;; amdgpu-corpus repo=ROCm/rocFFT kind=compiled arch=gfx1030 opt=O3
	.text
	.amdgcn_target "amdgcn-amd-amdhsa--gfx1030"
	.amdhsa_code_object_version 6
	.protected	fft_rtc_fwd_len408_factors_17_3_8_wgs_51_tpt_17_halfLds_half_ip_CI_unitstride_sbrr_R2C_dirReg ; -- Begin function fft_rtc_fwd_len408_factors_17_3_8_wgs_51_tpt_17_halfLds_half_ip_CI_unitstride_sbrr_R2C_dirReg
	.globl	fft_rtc_fwd_len408_factors_17_3_8_wgs_51_tpt_17_halfLds_half_ip_CI_unitstride_sbrr_R2C_dirReg
	.p2align	8
	.type	fft_rtc_fwd_len408_factors_17_3_8_wgs_51_tpt_17_halfLds_half_ip_CI_unitstride_sbrr_R2C_dirReg,@function
fft_rtc_fwd_len408_factors_17_3_8_wgs_51_tpt_17_halfLds_half_ip_CI_unitstride_sbrr_R2C_dirReg: ; @fft_rtc_fwd_len408_factors_17_3_8_wgs_51_tpt_17_halfLds_half_ip_CI_unitstride_sbrr_R2C_dirReg
; %bb.0:
	s_load_dwordx4 s[8:11], s[4:5], 0x0
	v_mul_u32_u24_e32 v1, 0xf10, v0
	s_clause 0x1
	s_load_dwordx2 s[2:3], s[4:5], 0x50
	s_load_dwordx2 s[12:13], s[4:5], 0x18
	v_mov_b32_e32 v5, 0
	v_mov_b32_e32 v3, 0
	;; [unrolled: 1-line block ×3, first 2 shown]
	v_lshrrev_b32_e32 v1, 16, v1
	v_mad_u64_u32 v[1:2], null, s6, 3, v[1:2]
	v_mov_b32_e32 v2, v5
	v_mov_b32_e32 v10, v2
	;; [unrolled: 1-line block ×3, first 2 shown]
	s_waitcnt lgkmcnt(0)
	v_cmp_lt_u64_e64 s0, s[10:11], 2
	s_and_b32 vcc_lo, exec_lo, s0
	s_cbranch_vccnz .LBB0_8
; %bb.1:
	s_load_dwordx2 s[0:1], s[4:5], 0x10
	v_mov_b32_e32 v3, 0
	v_mov_b32_e32 v8, v2
	s_add_u32 s6, s12, 8
	v_mov_b32_e32 v4, 0
	v_mov_b32_e32 v7, v1
	s_addc_u32 s7, s13, 0
	s_mov_b64 s[16:17], 1
	s_waitcnt lgkmcnt(0)
	s_add_u32 s14, s0, 8
	s_addc_u32 s15, s1, 0
.LBB0_2:                                ; =>This Inner Loop Header: Depth=1
	s_load_dwordx2 s[18:19], s[14:15], 0x0
                                        ; implicit-def: $vgpr9_vgpr10
	s_mov_b32 s0, exec_lo
	s_waitcnt lgkmcnt(0)
	v_or_b32_e32 v6, s19, v8
	v_cmpx_ne_u64_e32 0, v[5:6]
	s_xor_b32 s1, exec_lo, s0
	s_cbranch_execz .LBB0_4
; %bb.3:                                ;   in Loop: Header=BB0_2 Depth=1
	v_cvt_f32_u32_e32 v2, s18
	v_cvt_f32_u32_e32 v6, s19
	s_sub_u32 s0, 0, s18
	s_subb_u32 s20, 0, s19
	v_fmac_f32_e32 v2, 0x4f800000, v6
	v_rcp_f32_e32 v2, v2
	v_mul_f32_e32 v2, 0x5f7ffffc, v2
	v_mul_f32_e32 v6, 0x2f800000, v2
	v_trunc_f32_e32 v6, v6
	v_fmac_f32_e32 v2, 0xcf800000, v6
	v_cvt_u32_f32_e32 v6, v6
	v_cvt_u32_f32_e32 v2, v2
	v_mul_lo_u32 v9, s0, v6
	v_mul_hi_u32 v10, s0, v2
	v_mul_lo_u32 v11, s20, v2
	v_add_nc_u32_e32 v9, v10, v9
	v_mul_lo_u32 v10, s0, v2
	v_add_nc_u32_e32 v9, v9, v11
	v_mul_hi_u32 v11, v2, v10
	v_mul_lo_u32 v12, v2, v9
	v_mul_hi_u32 v13, v2, v9
	v_mul_hi_u32 v14, v6, v10
	v_mul_lo_u32 v10, v6, v10
	v_mul_hi_u32 v15, v6, v9
	v_mul_lo_u32 v9, v6, v9
	v_add_co_u32 v11, vcc_lo, v11, v12
	v_add_co_ci_u32_e32 v12, vcc_lo, 0, v13, vcc_lo
	v_add_co_u32 v10, vcc_lo, v11, v10
	v_add_co_ci_u32_e32 v10, vcc_lo, v12, v14, vcc_lo
	v_add_co_ci_u32_e32 v11, vcc_lo, 0, v15, vcc_lo
	v_add_co_u32 v9, vcc_lo, v10, v9
	v_add_co_ci_u32_e32 v10, vcc_lo, 0, v11, vcc_lo
	v_add_co_u32 v2, vcc_lo, v2, v9
	v_add_co_ci_u32_e32 v6, vcc_lo, v6, v10, vcc_lo
	v_mul_hi_u32 v9, s0, v2
	v_mul_lo_u32 v11, s20, v2
	v_mul_lo_u32 v10, s0, v6
	v_add_nc_u32_e32 v9, v9, v10
	v_mul_lo_u32 v10, s0, v2
	v_add_nc_u32_e32 v9, v9, v11
	v_mul_hi_u32 v11, v2, v10
	v_mul_lo_u32 v12, v2, v9
	v_mul_hi_u32 v13, v2, v9
	v_mul_hi_u32 v14, v6, v10
	v_mul_lo_u32 v10, v6, v10
	v_mul_hi_u32 v15, v6, v9
	v_mul_lo_u32 v9, v6, v9
	v_add_co_u32 v11, vcc_lo, v11, v12
	v_add_co_ci_u32_e32 v12, vcc_lo, 0, v13, vcc_lo
	v_add_co_u32 v10, vcc_lo, v11, v10
	v_add_co_ci_u32_e32 v10, vcc_lo, v12, v14, vcc_lo
	v_add_co_ci_u32_e32 v11, vcc_lo, 0, v15, vcc_lo
	v_add_co_u32 v9, vcc_lo, v10, v9
	v_add_co_ci_u32_e32 v10, vcc_lo, 0, v11, vcc_lo
	v_add_co_u32 v2, vcc_lo, v2, v9
	v_add_co_ci_u32_e32 v6, vcc_lo, v6, v10, vcc_lo
	v_mul_hi_u32 v15, v7, v2
	v_mad_u64_u32 v[11:12], null, v8, v2, 0
	v_mad_u64_u32 v[9:10], null, v7, v6, 0
	v_mad_u64_u32 v[13:14], null, v8, v6, 0
	v_add_co_u32 v2, vcc_lo, v15, v9
	v_add_co_ci_u32_e32 v6, vcc_lo, 0, v10, vcc_lo
	v_add_co_u32 v2, vcc_lo, v2, v11
	v_add_co_ci_u32_e32 v2, vcc_lo, v6, v12, vcc_lo
	v_add_co_ci_u32_e32 v6, vcc_lo, 0, v14, vcc_lo
	v_add_co_u32 v2, vcc_lo, v2, v13
	v_add_co_ci_u32_e32 v6, vcc_lo, 0, v6, vcc_lo
	v_mul_lo_u32 v11, s19, v2
	v_mad_u64_u32 v[9:10], null, s18, v2, 0
	v_mul_lo_u32 v12, s18, v6
	v_sub_co_u32 v9, vcc_lo, v7, v9
	v_add3_u32 v10, v10, v12, v11
	v_sub_nc_u32_e32 v11, v8, v10
	v_subrev_co_ci_u32_e64 v11, s0, s19, v11, vcc_lo
	v_add_co_u32 v12, s0, v2, 2
	v_add_co_ci_u32_e64 v13, s0, 0, v6, s0
	v_sub_co_u32 v14, s0, v9, s18
	v_sub_co_ci_u32_e32 v10, vcc_lo, v8, v10, vcc_lo
	v_subrev_co_ci_u32_e64 v11, s0, 0, v11, s0
	v_cmp_le_u32_e32 vcc_lo, s18, v14
	v_cmp_eq_u32_e64 s0, s19, v10
	v_cndmask_b32_e64 v14, 0, -1, vcc_lo
	v_cmp_le_u32_e32 vcc_lo, s19, v11
	v_cndmask_b32_e64 v15, 0, -1, vcc_lo
	v_cmp_le_u32_e32 vcc_lo, s18, v9
	;; [unrolled: 2-line block ×3, first 2 shown]
	v_cndmask_b32_e64 v16, 0, -1, vcc_lo
	v_cmp_eq_u32_e32 vcc_lo, s19, v11
	v_cndmask_b32_e64 v9, v16, v9, s0
	v_cndmask_b32_e32 v11, v15, v14, vcc_lo
	v_add_co_u32 v14, vcc_lo, v2, 1
	v_add_co_ci_u32_e32 v15, vcc_lo, 0, v6, vcc_lo
	v_cmp_ne_u32_e32 vcc_lo, 0, v11
	v_cndmask_b32_e32 v10, v15, v13, vcc_lo
	v_cndmask_b32_e32 v11, v14, v12, vcc_lo
	v_cmp_ne_u32_e32 vcc_lo, 0, v9
	v_cndmask_b32_e32 v10, v6, v10, vcc_lo
	v_cndmask_b32_e32 v9, v2, v11, vcc_lo
.LBB0_4:                                ;   in Loop: Header=BB0_2 Depth=1
	s_andn2_saveexec_b32 s0, s1
	s_cbranch_execz .LBB0_6
; %bb.5:                                ;   in Loop: Header=BB0_2 Depth=1
	v_cvt_f32_u32_e32 v2, s18
	s_sub_i32 s1, 0, s18
	v_rcp_iflag_f32_e32 v2, v2
	v_mul_f32_e32 v2, 0x4f7ffffe, v2
	v_cvt_u32_f32_e32 v2, v2
	v_mul_lo_u32 v6, s1, v2
	v_mul_hi_u32 v6, v2, v6
	v_add_nc_u32_e32 v2, v2, v6
	v_mul_hi_u32 v2, v7, v2
	v_mul_lo_u32 v6, v2, s18
	v_add_nc_u32_e32 v9, 1, v2
	v_sub_nc_u32_e32 v6, v7, v6
	v_subrev_nc_u32_e32 v10, s18, v6
	v_cmp_le_u32_e32 vcc_lo, s18, v6
	v_cndmask_b32_e32 v6, v6, v10, vcc_lo
	v_cndmask_b32_e32 v2, v2, v9, vcc_lo
	v_mov_b32_e32 v10, v5
	v_cmp_le_u32_e32 vcc_lo, s18, v6
	v_add_nc_u32_e32 v9, 1, v2
	v_cndmask_b32_e32 v9, v2, v9, vcc_lo
.LBB0_6:                                ;   in Loop: Header=BB0_2 Depth=1
	s_or_b32 exec_lo, exec_lo, s0
	s_load_dwordx2 s[0:1], s[6:7], 0x0
	v_mul_lo_u32 v2, v10, s18
	v_mul_lo_u32 v6, v9, s19
	v_mad_u64_u32 v[11:12], null, v9, s18, 0
	s_add_u32 s16, s16, 1
	s_addc_u32 s17, s17, 0
	s_add_u32 s6, s6, 8
	s_addc_u32 s7, s7, 0
	;; [unrolled: 2-line block ×3, first 2 shown]
	v_add3_u32 v2, v12, v6, v2
	v_sub_co_u32 v6, vcc_lo, v7, v11
	v_sub_co_ci_u32_e32 v2, vcc_lo, v8, v2, vcc_lo
	s_waitcnt lgkmcnt(0)
	v_mul_lo_u32 v7, s1, v6
	v_mul_lo_u32 v2, s0, v2
	v_mad_u64_u32 v[3:4], null, s0, v6, v[3:4]
	v_cmp_ge_u64_e64 s0, s[16:17], s[10:11]
	s_and_b32 vcc_lo, exec_lo, s0
	v_add3_u32 v4, v7, v4, v2
	s_cbranch_vccnz .LBB0_8
; %bb.7:                                ;   in Loop: Header=BB0_2 Depth=1
	v_mov_b32_e32 v7, v9
	v_mov_b32_e32 v8, v10
	s_branch .LBB0_2
.LBB0_8:
	s_lshl_b64 s[0:1], s[10:11], 3
	v_mul_hi_u32 v2, 0xaaaaaaab, v1
	s_add_u32 s0, s12, s0
	s_addc_u32 s1, s13, s1
	v_mul_hi_u32 v5, 0xf0f0f10, v0
	s_load_dwordx2 s[0:1], s[0:1], 0x0
	s_load_dwordx2 s[4:5], s[4:5], 0x20
	v_lshrrev_b32_e32 v6, 1, v2
	v_mul_u32_u24_e32 v5, 17, v5
	v_sub_nc_u32_e32 v0, v0, v5
	s_waitcnt lgkmcnt(0)
	v_mul_lo_u32 v7, s0, v10
	v_mul_lo_u32 v8, s1, v9
	v_mad_u64_u32 v[2:3], null, s0, v9, v[3:4]
	v_lshl_add_u32 v4, v6, 1, v6
	v_cmp_gt_u64_e32 vcc_lo, s[4:5], v[9:10]
	v_cmp_le_u64_e64 s0, s[4:5], v[9:10]
	v_sub_nc_u32_e32 v1, v1, v4
	v_add3_u32 v3, v8, v3, v7
	v_add_nc_u32_e32 v4, 17, v0
	s_and_saveexec_b32 s1, s0
	s_xor_b32 s0, exec_lo, s1
; %bb.9:
	v_add_nc_u32_e32 v4, 17, v0
; %bb.10:
	s_or_saveexec_b32 s1, s0
	v_mul_u32_u24_e32 v1, 0x199, v1
	v_lshlrev_b64 v[2:3], 2, v[2:3]
	v_lshlrev_b32_e32 v39, 2, v0
	v_lshlrev_b32_e32 v41, 2, v1
	s_xor_b32 exec_lo, exec_lo, s1
	s_cbranch_execz .LBB0_12
; %bb.11:
	v_mov_b32_e32 v1, 0
	v_lshlrev_b64 v[5:6], 2, v[0:1]
	v_add_co_u32 v1, s0, s2, v2
	v_add_co_ci_u32_e64 v7, s0, s3, v3, s0
	v_add_co_u32 v5, s0, v1, v5
	v_add_co_ci_u32_e64 v6, s0, v7, v6, s0
	s_clause 0x17
	global_load_dword v1, v[5:6], off
	global_load_dword v7, v[5:6], off offset:68
	global_load_dword v8, v[5:6], off offset:136
	;; [unrolled: 1-line block ×23, first 2 shown]
	v_add3_u32 v6, 0, v41, v39
	v_add_nc_u32_e32 v29, 0x400, v6
	s_waitcnt vmcnt(22)
	ds_write2_b32 v6, v1, v7 offset1:17
	s_waitcnt vmcnt(20)
	ds_write2_b32 v6, v8, v9 offset0:34 offset1:51
	s_waitcnt vmcnt(18)
	ds_write2_b32 v6, v10, v11 offset0:68 offset1:85
	;; [unrolled: 2-line block ×11, first 2 shown]
.LBB0_12:
	s_or_b32 exec_lo, exec_lo, s1
	v_add_nc_u32_e32 v1, 0, v39
	v_add_nc_u32_e32 v38, 0, v41
	s_waitcnt lgkmcnt(0)
	s_barrier
	buffer_gl0_inv
	v_add_nc_u32_e32 v1, v1, v41
	v_add_nc_u32_e32 v37, v38, v39
	v_mov_b32_e32 v44, 0xb5c8
	v_mov_b32_e32 v45, 0xb964
	;; [unrolled: 1-line block ×3, first 2 shown]
	v_add_nc_u32_e32 v40, 0x400, v1
	v_mov_b32_e32 v43, 0xbbf7
	v_mov_b32_e32 v48, 0xbbb2
	;; [unrolled: 1-line block ×3, first 2 shown]
	ds_read2_b32 v[5:6], v1 offset0:17 offset1:24
	ds_read2_b32 v[7:8], v40 offset0:121 offset1:128
	;; [unrolled: 1-line block ×8, first 2 shown]
	ds_read_b32 v54, v37
	ds_read_b32 v77, v1 offset:1604
	v_mad_u32_u24 v95, 0x44, v0, v38
	s_mov_b32 s1, exec_lo
	s_waitcnt lgkmcnt(8)
	v_pk_add_f16 v47, v8, v6
	v_pk_add_f16 v71, v6, v8 neg_lo:[0,1] neg_hi:[0,1]
	s_waitcnt lgkmcnt(6)
	v_pk_add_f16 v46, v10, v20
	v_pk_add_f16 v70, v20, v10 neg_lo:[0,1] neg_hi:[0,1]
	s_waitcnt lgkmcnt(4)
	v_pk_add_f16 v50, v12, v18
	v_pk_mul_f16 v22, 0x3b7639e9, v47
	v_mul_f16_sdwa v56, v71, v44 dst_sel:DWORD dst_unused:UNUSED_PAD src0_sel:WORD_1 src1_sel:DWORD
	v_pk_add_f16 v73, v18, v12 neg_lo:[0,1] neg_hi:[0,1]
	v_lshrrev_b32_e32 v64, 16, v47
	v_mul_f16_e32 v66, 0xb964, v71
	v_mul_f16_sdwa v57, v70, v45 dst_sel:DWORD dst_unused:UNUSED_PAD src0_sel:WORD_1 src1_sel:DWORD
	v_pk_mul_f16 v24, 0x39e92de8, v46
	v_fma_f16 v21, v47, 0x3b76, -v56
	v_pk_fma_f16 v59, 0xb964b5c8, v71, v22 op_sel:[0,0,1] op_sel_hi:[1,1,0] neg_lo:[0,1,0] neg_hi:[0,1,0]
	v_pk_fma_f16 v67, 0xb964b5c8, v71, v22 op_sel:[0,0,1] op_sel_hi:[1,1,0]
	v_mul_f16_sdwa v55, v73, v42 dst_sel:DWORD dst_unused:UNUSED_PAD src0_sel:WORD_1 src1_sel:DWORD
	v_pk_mul_f16 v23, 0x3722b8d2, v50
	v_fmamk_f16 v22, v64, 0x39e9, v66
	v_fma_f16 v25, v46, 0x39e9, -v57
	v_pk_fma_f16 v58, 0xbbf7b964, v70, v24 op_sel:[0,0,1] op_sel_hi:[1,1,0] neg_lo:[0,1,0] neg_hi:[0,1,0]
	v_pk_fma_f16 v65, 0xbbf7b964, v70, v24 op_sel:[0,0,1] op_sel_hi:[1,1,0]
	v_bfi_b32 v29, 0xffff, v67, v59
	s_waitcnt lgkmcnt(1)
	v_add_f16_e32 v30, v54, v21
	v_pk_add_f16 v53, v14, v16
	v_fma_f16 v24, v50, 0x3722, -v55
	v_pk_fma_f16 v79, 0xba62bb29, v73, v23 op_sel:[0,0,1] op_sel_hi:[1,1,0] neg_lo:[0,1,0] neg_hi:[0,1,0]
	v_add_f16_sdwa v31, v54, v22 dst_sel:DWORD dst_unused:UNUSED_PAD src0_sel:WORD_1 src1_sel:DWORD
	v_bfi_b32 v32, 0xffff, v65, v58
	ds_read2_b32 v[27:28], v1 offset0:113 offset1:120
	ds_read2_b32 v[21:22], v40 offset0:25 offset1:32
	v_pk_add_f16 v29, v54, v29 op_sel:[1,0] op_sel_hi:[0,1]
	v_add_f16_e32 v25, v25, v30
	v_pk_fma_f16 v105, 0xba62bb29, v73, v23 op_sel:[0,0,1] op_sel_hi:[1,1,0]
	v_pk_add_f16 v76, v16, v14 neg_lo:[0,1] neg_hi:[0,1]
	v_lshrrev_b32_e32 v62, 16, v46
	v_mul_f16_e32 v63, 0xbbf7, v70
	v_pk_mul_f16 v23, 0x2de8bbdd, v53
	v_pk_add_f16 v29, v32, v29
	v_add_f16_e32 v25, v24, v25
	v_bfi_b32 v24, 0xffff, v105, v79
	v_lshrrev_b32_e32 v60, 16, v50
	v_mul_f16_e32 v61, 0xba62, v73
	v_fmamk_f16 v26, v62, 0x2de8, v63
	v_pk_fma_f16 v80, 0xb1e1bbf7, v76, v23 op_sel:[0,0,1] op_sel_hi:[1,1,0] neg_lo:[0,1,0] neg_hi:[0,1,0]
	v_pk_fma_f16 v104, 0xb1e1bbf7, v76, v23 op_sel:[0,0,1] op_sel_hi:[1,1,0]
	v_pk_add_f16 v32, v24, v29
	ds_read2_b32 v[29:30], v1 offset0:137 offset1:144
	ds_read2_b32 v[23:24], v40 offset0:1 offset1:8
	v_add_f16_e32 v26, v26, v31
	v_fmamk_f16 v31, v60, 0xb8d2, v61
	v_mul_f16_sdwa v81, v76, v43 dst_sel:DWORD dst_unused:UNUSED_PAD src0_sel:WORD_1 src1_sel:DWORD
	v_lshrrev_b32_e32 v106, 16, v53
	v_mul_f16_e32 v107, 0xb1e1, v76
	s_waitcnt lgkmcnt(2)
	v_pk_add_f16 v82, v22, v28
	v_add_f16_e32 v26, v31, v26
	v_fma_f16 v31, v53, 0x2de8, -v81
	v_bfi_b32 v33, 0xffff, v104, v80
	v_fmamk_f16 v34, v106, 0xbbdd, v107
	v_pk_add_f16 v146, v28, v22 neg_lo:[0,1] neg_hi:[0,1]
	v_pk_mul_f16 v35, 0xb461bacd, v82
	v_add_f16_e32 v51, v31, v25
	v_pk_add_f16 v52, v33, v32
	v_add_f16_e32 v68, v34, v26
	ds_read2_b32 v[33:34], v1 offset0:161 offset1:168
	ds_read2_b32 v[25:26], v1 offset0:233 offset1:240
	v_pk_fma_f16 v83, 0x3836bbb2, v146, v35 op_sel:[0,0,1] op_sel_hi:[1,1,0] neg_lo:[0,1,0] neg_hi:[0,1,0]
	v_pk_fma_f16 v108, 0x3836bbb2, v146, v35 op_sel:[0,0,1] op_sel_hi:[1,1,0]
	ds_read2_b32 v[35:36], v1 offset0:185 offset1:192
	ds_read2_b32 v[31:32], v1 offset0:209 offset1:216
	s_waitcnt lgkmcnt(4)
	v_pk_add_f16 v86, v24, v30
	v_mul_f16_sdwa v84, v146, v48 dst_sel:DWORD dst_unused:UNUSED_PAD src0_sel:WORD_1 src1_sel:DWORD
	v_pk_add_f16 v147, v30, v24 neg_lo:[0,1] neg_hi:[0,1]
	v_lshrrev_b32_e32 v109, 16, v82
	v_mul_f16_e32 v110, 0x3836, v146
	v_pk_mul_f16 v74, 0xb8d2b461, v86
	v_fma_f16 v69, v82, 0xb461, -v84
	v_bfi_b32 v72, 0xffff, v108, v83
	v_mul_f16_sdwa v88, v147, v49 dst_sel:DWORD dst_unused:UNUSED_PAD src0_sel:WORD_1 src1_sel:DWORD
	v_fmamk_f16 v75, v109, 0xbacd, v110
	v_pk_fma_f16 v87, 0x3bb2ba62, v147, v74 op_sel:[0,0,1] op_sel_hi:[1,1,0] neg_lo:[0,1,0] neg_hi:[0,1,0]
	v_pk_fma_f16 v97, 0x3bb2ba62, v147, v74 op_sel:[0,0,1] op_sel_hi:[1,1,0]
	v_add_f16_e32 v69, v69, v51
	v_pk_add_f16 v52, v72, v52
	v_fma_f16 v72, v86, 0xb8d2, -v88
	v_lshrrev_b32_e32 v111, 16, v86
	v_bfi_b32 v74, 0xffff, v97, v87
	s_waitcnt lgkmcnt(2)
	v_pk_add_f16 v89, v26, v34
	v_mul_f16_e32 v112, 0x3bb2, v147
	v_add_f16_e32 v68, v75, v68
	v_mov_b32_e32 v51, 0xb836
	v_pk_add_f16 v148, v34, v26 neg_lo:[0,1] neg_hi:[0,1]
	v_pk_mul_f16 v75, 0xbacd3722, v89
	v_add_f16_e32 v69, v72, v69
	v_pk_add_f16 v72, v74, v52
	v_fmamk_f16 v52, v111, 0xb461, v112
	s_waitcnt lgkmcnt(0)
	v_pk_add_f16 v92, v32, v36
	v_mul_f16_sdwa v91, v148, v51 dst_sel:DWORD dst_unused:UNUSED_PAD src0_sel:WORD_1 src1_sel:DWORD
	v_pk_fma_f16 v90, 0x3b29b836, v148, v75 op_sel:[0,0,1] op_sel_hi:[1,1,0] neg_lo:[0,1,0] neg_hi:[0,1,0]
	v_pk_fma_f16 v96, 0x3b29b836, v148, v75 op_sel:[0,0,1] op_sel_hi:[1,1,0]
	v_lshrrev_b32_e32 v102, 16, v89
	v_mul_f16_e32 v103, 0x3b29, v148
	v_pk_add_f16 v100, v36, v32 neg_lo:[0,1] neg_hi:[0,1]
	v_pk_mul_f16 v101, 0xbbdd3b76, v92
	v_add_f16_e32 v68, v52, v68
	v_mov_b32_e32 v52, 0xb1e1
	v_fma_f16 v74, v89, 0xbacd, -v91
	v_bfi_b32 v75, 0xffff, v96, v90
	v_fmamk_f16 v78, v102, 0x3722, v103
	v_pk_fma_f16 v93, 0x35c8b1e1, v100, v101 op_sel:[0,0,1] op_sel_hi:[1,1,0] neg_lo:[0,1,0] neg_hi:[0,1,0]
	v_pk_fma_f16 v85, 0x35c8b1e1, v100, v101 op_sel:[0,0,1] op_sel_hi:[1,1,0]
	v_lshrrev_b32_e32 v98, 16, v92
	v_mul_f16_e32 v99, 0x35c8, v100
	v_mul_f16_sdwa v94, v100, v52 dst_sel:DWORD dst_unused:UNUSED_PAD src0_sel:WORD_1 src1_sel:DWORD
	v_pk_add_f16 v72, v75, v72
	v_add_f16_e32 v68, v78, v68
	v_bfi_b32 v75, 0xffff, v85, v93
	v_fmamk_f16 v78, v98, 0x3b76, v99
	v_add_f16_e32 v69, v74, v69
	v_fma_f16 v74, v92, 0xbbdd, -v94
	v_mul_f16_sdwa v114, v71, v42 dst_sel:DWORD dst_unused:UNUSED_PAD src0_sel:WORD_1 src1_sel:DWORD
	v_pk_add_f16 v72, v75, v72
	v_add_f16_e32 v68, v78, v68
	v_mul_f16_sdwa v115, v70, v49 dst_sel:DWORD dst_unused:UNUSED_PAD src0_sel:WORD_1 src1_sel:DWORD
	v_add_f16_e32 v69, v74, v69
	v_mul_f16_e32 v120, 0xbb29, v71
	v_alignbit_b32 v68, v68, v72, 16
	s_barrier
	v_pack_b32_f16 v69, v69, v72
	v_fma_f16 v72, v47, 0x3722, -v114
	buffer_gl0_inv
	v_fma_f16 v74, v46, 0xb8d2, -v115
	v_mul_f16_sdwa v131, v71, v43 dst_sel:DWORD dst_unused:UNUSED_PAD src0_sel:WORD_1 src1_sel:DWORD
	ds_write2_b32 v95, v69, v68 offset0:1 offset1:2
	v_add_f16_e32 v72, v54, v72
	v_fmamk_f16 v68, v64, 0x3722, v120
	v_mul_f16_e32 v119, 0xba62, v70
	v_fma_f16 v69, v47, 0x2de8, -v131
	v_mul_f16_sdwa v130, v70, v52 dst_sel:DWORD dst_unused:UNUSED_PAD src0_sel:WORD_1 src1_sel:DWORD
	v_add_f16_e32 v72, v74, v72
	v_add_f16_sdwa v74, v54, v68 dst_sel:DWORD dst_unused:UNUSED_PAD src0_sel:WORD_1 src1_sel:DWORD
	v_fmamk_f16 v75, v62, 0xb8d2, v119
	v_mul_f16_e32 v134, 0xbbf7, v71
	v_add_f16_e32 v69, v54, v69
	v_fma_f16 v78, v46, 0xbbdd, -v130
	v_mov_b32_e32 v68, 0x31e1
	v_add_f16_e32 v74, v75, v74
	v_fmamk_f16 v75, v64, 0x2de8, v134
	v_mul_f16_e32 v133, 0xb1e1, v70
	v_add_f16_e32 v78, v78, v69
	v_mul_f16_sdwa v121, v73, v68 dst_sel:DWORD dst_unused:UNUSED_PAD src0_sel:WORD_1 src1_sel:DWORD
	v_mov_b32_e32 v69, 0x3bb2
	v_add_f16_sdwa v75, v54, v75 dst_sel:DWORD dst_unused:UNUSED_PAD src0_sel:WORD_1 src1_sel:DWORD
	v_fmamk_f16 v85, v62, 0xbbdd, v133
	v_mul_f16_e32 v124, 0x31e1, v73
	v_fma_f16 v113, v50, 0xbbdd, -v121
	v_mul_f16_sdwa v132, v73, v69 dst_sel:DWORD dst_unused:UNUSED_PAD src0_sel:WORD_1 src1_sel:DWORD
	v_mul_f16_e32 v135, 0x3bb2, v73
	v_add_f16_e32 v75, v85, v75
	v_fmamk_f16 v85, v60, 0xbbdd, v124
	v_add_f16_e32 v113, v113, v72
	v_fma_f16 v72, v50, 0xb461, -v132
	v_fmamk_f16 v116, v60, 0xb461, v135
	v_mul_f16_sdwa v123, v76, v69 dst_sel:DWORD dst_unused:UNUSED_PAD src0_sel:WORD_1 src1_sel:DWORD
	v_add_f16_e32 v85, v85, v74
	v_mov_b32_e32 v74, 0x35c8
	v_add_f16_e32 v78, v72, v78
	v_add_f16_e32 v75, v116, v75
	v_fma_f16 v116, v53, 0xb461, -v123
	v_mul_f16_e32 v125, 0x3bb2, v76
	v_mul_f16_sdwa v136, v76, v74 dst_sel:DWORD dst_unused:UNUSED_PAD src0_sel:WORD_1 src1_sel:DWORD
	v_mul_f16_e32 v137, 0x35c8, v76
	v_mov_b32_e32 v72, 0x3964
	v_add_f16_e32 v113, v116, v113
	v_fmamk_f16 v116, v106, 0xb461, v125
	v_fma_f16 v117, v53, 0x3b76, -v136
	v_fmamk_f16 v122, v106, 0x3b76, v137
	v_mul_f16_sdwa v118, v146, v72 dst_sel:DWORD dst_unused:UNUSED_PAD src0_sel:WORD_1 src1_sel:DWORD
	v_mul_f16_e32 v127, 0x3964, v146
	v_add_f16_e32 v85, v116, v85
	v_add_f16_e32 v78, v117, v78
	;; [unrolled: 1-line block ×3, first 2 shown]
	v_fma_f16 v117, v82, 0x39e9, -v118
	v_fmamk_f16 v122, v109, 0x39e9, v127
	v_mul_f16_sdwa v138, v146, v42 dst_sel:DWORD dst_unused:UNUSED_PAD src0_sel:WORD_1 src1_sel:DWORD
	v_mul_f16_e32 v140, 0xbb29, v146
	v_mul_f16_sdwa v116, v147, v44 dst_sel:DWORD dst_unused:UNUSED_PAD src0_sel:WORD_1 src1_sel:DWORD
	v_add_f16_e32 v113, v117, v113
	v_add_f16_e32 v85, v122, v85
	v_fma_f16 v117, v82, 0x3722, -v138
	v_fmamk_f16 v122, v109, 0x3722, v140
	v_mul_f16_sdwa v139, v147, v51 dst_sel:DWORD dst_unused:UNUSED_PAD src0_sel:WORD_1 src1_sel:DWORD
	v_fma_f16 v126, v86, 0x3b76, -v116
	v_mul_f16_e32 v129, 0xb5c8, v147
	v_add_f16_e32 v78, v117, v78
	v_add_f16_e32 v122, v122, v75
	v_fma_f16 v128, v86, 0xbacd, -v139
	v_mul_f16_e32 v143, 0xb836, v147
	v_mov_b32_e32 v75, 0x3a62
	v_add_f16_e32 v113, v126, v113
	v_fmamk_f16 v126, v111, 0x3b76, v129
	v_mul_f16_sdwa v117, v148, v43 dst_sel:DWORD dst_unused:UNUSED_PAD src0_sel:WORD_1 src1_sel:DWORD
	v_add_f16_e32 v78, v128, v78
	v_fmamk_f16 v128, v111, 0xbacd, v143
	v_mul_f16_sdwa v141, v148, v75 dst_sel:DWORD dst_unused:UNUSED_PAD src0_sel:WORD_1 src1_sel:DWORD
	v_mul_f16_e32 v144, 0x3a62, v148
	v_add_f16_e32 v85, v126, v85
	v_fma_f16 v142, v89, 0x2de8, -v117
	v_mul_f16_e32 v126, 0xbbf7, v148
	v_add_f16_e32 v128, v128, v122
	v_fma_f16 v145, v89, 0xb8d2, -v141
	v_fmamk_f16 v150, v102, 0xb8d2, v144
	v_mul_f16_sdwa v122, v100, v51 dst_sel:DWORD dst_unused:UNUSED_PAD src0_sel:WORD_1 src1_sel:DWORD
	v_add_f16_e32 v113, v142, v113
	v_fmamk_f16 v149, v102, 0x2de8, v126
	v_mul_f16_sdwa v142, v100, v72 dst_sel:DWORD dst_unused:UNUSED_PAD src0_sel:WORD_1 src1_sel:DWORD
	v_add_f16_e32 v78, v145, v78
	v_mul_f16_e32 v145, 0x3964, v100
	v_add_f16_e32 v150, v150, v128
	v_fma_f16 v151, v92, 0xbacd, -v122
	v_mul_f16_e32 v128, 0xbacd, v98
	v_fma_f16 v152, v92, 0x39e9, -v142
	v_fmamk_f16 v153, v98, 0x39e9, v145
	v_add_f16_e32 v85, v149, v85
	v_add_f16_e32 v113, v151, v113
	v_fmamk_f16 v151, v100, 0xb836, v128
	v_add_f16_e32 v149, v152, v78
	v_add_f16_e32 v150, v153, v150
	v_mul_f16_sdwa v152, v71, v48 dst_sel:DWORD dst_unused:UNUSED_PAD src0_sel:WORD_1 src1_sel:DWORD
	v_mov_b32_e32 v78, 0x3836
	v_mul_f16_e32 v153, 0xbbb2, v71
	v_add_f16_e32 v85, v151, v85
	v_pack_b32_f16 v149, v149, v150
	v_fma_f16 v150, v47, 0xb461, -v152
	v_mul_f16_sdwa v151, v70, v78 dst_sel:DWORD dst_unused:UNUSED_PAD src0_sel:WORD_1 src1_sel:DWORD
	v_fmamk_f16 v154, v64, 0xb461, v153
	v_mul_f16_e32 v155, 0x3836, v70
	v_pack_b32_f16 v85, v113, v85
	v_add_f16_e32 v113, v54, v150
	v_fma_f16 v150, v46, 0xbacd, -v151
	v_add_f16_sdwa v154, v54, v154 dst_sel:DWORD dst_unused:UNUSED_PAD src0_sel:WORD_1 src1_sel:DWORD
	v_fmamk_f16 v156, v62, 0xbacd, v155
	v_mul_f16_sdwa v157, v71, v49 dst_sel:DWORD dst_unused:UNUSED_PAD src0_sel:WORD_1 src1_sel:DWORD
	ds_write2_b32 v95, v85, v149 offset0:3 offset1:4
	v_mul_f16_e32 v149, 0xba62, v71
	v_add_f16_e32 v85, v150, v113
	v_add_f16_e32 v113, v156, v154
	v_fma_f16 v150, v47, 0xb8d2, -v157
	v_mul_f16_sdwa v154, v70, v69 dst_sel:DWORD dst_unused:UNUSED_PAD src0_sel:WORD_1 src1_sel:DWORD
	v_fmamk_f16 v156, v64, 0xb8d2, v149
	v_mul_f16_e32 v158, 0x3bb2, v70
	v_mul_f16_sdwa v159, v73, v72 dst_sel:DWORD dst_unused:UNUSED_PAD src0_sel:WORD_1 src1_sel:DWORD
	v_add_f16_e32 v150, v54, v150
	v_fma_f16 v160, v46, 0xb461, -v154
	v_add_f16_sdwa v156, v54, v156 dst_sel:DWORD dst_unused:UNUSED_PAD src0_sel:WORD_1 src1_sel:DWORD
	v_fmamk_f16 v161, v62, 0xb461, v158
	v_fma_f16 v162, v50, 0x39e9, -v159
	v_mul_f16_e32 v163, 0x3964, v73
	v_mul_f16_sdwa v164, v73, v44 dst_sel:DWORD dst_unused:UNUSED_PAD src0_sel:WORD_1 src1_sel:DWORD
	v_add_f16_e32 v150, v160, v150
	v_add_f16_e32 v156, v161, v156
	;; [unrolled: 1-line block ×3, first 2 shown]
	v_fmamk_f16 v160, v60, 0x39e9, v163
	v_fma_f16 v161, v50, 0x3b76, -v164
	v_mul_f16_e32 v162, 0xb5c8, v73
	v_mul_f16_sdwa v165, v76, v42 dst_sel:DWORD dst_unused:UNUSED_PAD src0_sel:WORD_1 src1_sel:DWORD
	v_mul_f16_e32 v166, 0xbb29, v76
	v_add_f16_e32 v113, v160, v113
	v_add_f16_e32 v150, v161, v150
	v_fmamk_f16 v160, v60, 0x3b76, v162
	v_fma_f16 v161, v53, 0x3722, -v165
	v_fmamk_f16 v167, v106, 0x3722, v166
	v_mul_f16_sdwa v168, v76, v51 dst_sel:DWORD dst_unused:UNUSED_PAD src0_sel:WORD_1 src1_sel:DWORD
	v_mul_f16_e32 v169, 0xb836, v76
	v_add_f16_e32 v156, v160, v156
	v_add_f16_e32 v160, v161, v85
	;; [unrolled: 1-line block ×3, first 2 shown]
	v_fma_f16 v161, v53, 0xbacd, -v168
	v_fmamk_f16 v167, v106, 0xbacd, v169
	v_mul_f16_sdwa v170, v146, v52 dst_sel:DWORD dst_unused:UNUSED_PAD src0_sel:WORD_1 src1_sel:DWORD
	v_mul_f16_e32 v171, 0xb1e1, v146
	v_mov_b32_e32 v85, 0x3bf7
	v_add_f16_e32 v150, v161, v150
	v_add_f16_e32 v156, v167, v156
	v_fma_f16 v161, v82, 0xbbdd, -v170
	v_fmamk_f16 v167, v109, 0xbbdd, v171
	v_mul_f16_sdwa v172, v146, v85 dst_sel:DWORD dst_unused:UNUSED_PAD src0_sel:WORD_1 src1_sel:DWORD
	v_mul_f16_e32 v173, 0x3bf7, v146
	v_mul_f16_sdwa v174, v147, v85 dst_sel:DWORD dst_unused:UNUSED_PAD src0_sel:WORD_1 src1_sel:DWORD
	v_add_f16_e32 v160, v161, v160
	v_add_f16_e32 v113, v167, v113
	v_fma_f16 v161, v82, 0x2de8, -v172
	v_fmamk_f16 v167, v109, 0x2de8, v173
	v_fma_f16 v175, v86, 0x2de8, -v174
	v_mul_f16_e32 v176, 0x3bf7, v147
	v_mul_f16_sdwa v177, v147, v45 dst_sel:DWORD dst_unused:UNUSED_PAD src0_sel:WORD_1 src1_sel:DWORD
	v_add_f16_e32 v150, v161, v150
	v_add_f16_e32 v156, v167, v156
	;; [unrolled: 1-line block ×3, first 2 shown]
	v_fmamk_f16 v161, v111, 0x2de8, v176
	v_fma_f16 v167, v86, 0x39e9, -v177
	v_mul_f16_e32 v175, 0xb964, v147
	v_mul_f16_sdwa v178, v148, v44 dst_sel:DWORD dst_unused:UNUSED_PAD src0_sel:WORD_1 src1_sel:DWORD
	v_mul_f16_e32 v179, 0xb5c8, v148
	v_add_f16_e32 v161, v161, v113
	v_add_f16_e32 v150, v167, v150
	v_fmamk_f16 v113, v111, 0x39e9, v175
	v_fma_f16 v167, v89, 0x3b76, -v178
	v_mul_f16_sdwa v181, v148, v52 dst_sel:DWORD dst_unused:UNUSED_PAD src0_sel:WORD_1 src1_sel:DWORD
	v_fmamk_f16 v180, v102, 0x3b76, v179
	v_mul_f16_e32 v182, 0xb1e1, v148
	v_add_f16_e32 v156, v113, v156
	v_mov_b32_e32 v113, 0x3b29
	v_add_f16_e32 v160, v167, v160
	v_fma_f16 v167, v89, 0xbbdd, -v181
	v_add_f16_e32 v161, v180, v161
	v_fmamk_f16 v180, v102, 0xbbdd, v182
	v_mul_f16_sdwa v183, v100, v113 dst_sel:DWORD dst_unused:UNUSED_PAD src0_sel:WORD_1 src1_sel:DWORD
	v_mul_f16_sdwa v184, v100, v49 dst_sel:DWORD dst_unused:UNUSED_PAD src0_sel:WORD_1 src1_sel:DWORD
	v_mul_f16_e32 v185, 0x3b29, v100
	v_add_f16_e32 v150, v167, v150
	v_mul_f16_e32 v167, 0xba62, v100
	v_fma_f16 v186, v92, 0x3722, -v183
	v_add_f16_e32 v156, v180, v156
	v_fmamk_f16 v180, v98, 0x3722, v185
	v_fma_f16 v187, v92, 0xb8d2, -v184
	v_fmamk_f16 v188, v98, 0xb8d2, v167
	v_add_f16_e32 v150, v186, v150
	v_mul_f16_sdwa v186, v71, v51 dst_sel:DWORD dst_unused:UNUSED_PAD src0_sel:WORD_1 src1_sel:DWORD
	v_add_f16_e32 v156, v180, v156
	v_add_f16_e32 v160, v187, v160
	v_add_f16_e32 v161, v188, v161
	v_mul_f16_e32 v180, 0xb836, v71
	v_pk_add_f16 v6, v54, v6
	v_fma_f16 v187, v47, 0xbacd, -v186
	v_pack_b32_f16 v150, v150, v156
	v_mul_f16_sdwa v156, v70, v113 dst_sel:DWORD dst_unused:UNUSED_PAD src0_sel:WORD_1 src1_sel:DWORD
	v_pack_b32_f16 v160, v160, v161
	v_fmamk_f16 v161, v64, 0xbacd, v180
	v_mul_f16_e32 v188, 0x3b29, v70
	v_pk_add_f16 v6, v6, v20
	v_add_f16_e32 v187, v54, v187
	v_fma_f16 v189, v46, 0x3722, -v156
	v_add_f16_sdwa v161, v54, v161 dst_sel:DWORD dst_unused:UNUSED_PAD src0_sel:WORD_1 src1_sel:DWORD
	v_mul_f16_sdwa v190, v73, v43 dst_sel:DWORD dst_unused:UNUSED_PAD src0_sel:WORD_1 src1_sel:DWORD
	v_fmamk_f16 v191, v62, 0x3722, v188
	v_mul_f16_e32 v192, 0xbbf7, v73
	v_pk_add_f16 v6, v6, v18
	v_add_f16_e32 v20, v189, v187
	v_fma_f16 v187, v50, 0x2de8, -v190
	v_add_f16_e32 v161, v191, v161
	v_fmamk_f16 v189, v60, 0x2de8, v192
	v_mul_f16_sdwa v18, v76, v75 dst_sel:DWORD dst_unused:UNUSED_PAD src0_sel:WORD_1 src1_sel:DWORD
	v_pk_add_f16 v6, v6, v16
	v_add_f16_e32 v20, v187, v20
	v_mul_f16_e32 v187, 0x3a62, v76
	v_add_f16_e32 v161, v189, v161
	v_fma_f16 v16, v53, 0xb8d2, -v18
	v_mul_f16_sdwa v189, v146, v44 dst_sel:DWORD dst_unused:UNUSED_PAD src0_sel:WORD_1 src1_sel:DWORD
	v_pk_add_f16 v6, v6, v28
	v_fmamk_f16 v191, v106, 0xb8d2, v187
	v_mul_f16_e32 v193, 0xb5c8, v146
	v_add_f16_e32 v16, v16, v20
	v_fma_f16 v20, v82, 0x3b76, -v189
	v_pk_add_f16 v6, v6, v30
	v_add_f16_e32 v28, v191, v161
	v_fmamk_f16 v161, v109, 0x3b76, v193
	v_mul_f16_e32 v194, 0x3964, v148
	v_add_f16_e32 v16, v20, v16
	v_mul_f16_e32 v20, 0xb1e1, v147
	v_pk_add_f16 v6, v6, v34
	v_add_f16_e32 v28, v161, v28
	v_mul_f16_sdwa v30, v147, v52 dst_sel:DWORD dst_unused:UNUSED_PAD src0_sel:WORD_1 src1_sel:DWORD
	v_mul_f16_sdwa v161, v148, v72 dst_sel:DWORD dst_unused:UNUSED_PAD src0_sel:WORD_1 src1_sel:DWORD
	v_fmamk_f16 v191, v111, 0xbbdd, v20
	v_pk_add_f16 v6, v6, v36
	v_fmamk_f16 v36, v102, 0x39e9, v194
	v_fma_f16 v34, v86, 0xbbdd, -v30
	v_fmac_f16_e32 v157, 0xb8d2, v47
	v_add_f16_e32 v28, v191, v28
	v_pk_add_f16 v6, v6, v32
	v_pk_mul_f16 v32, 0xbbdd, v47 op_sel_hi:[0,1]
	v_add_f16_e32 v16, v34, v16
	v_fma_f16 v34, v89, 0x39e9, -v161
	v_add_f16_e32 v28, v36, v28
	v_pk_add_f16 v6, v6, v26
	v_pk_fma_f16 v26, 0xb1e1, v71, v32 op_sel:[0,0,1] op_sel_hi:[0,1,0] neg_lo:[0,1,0] neg_hi:[0,1,0]
	v_pk_mul_f16 v36, 0x3b76, v46 op_sel_hi:[0,1]
	v_pk_fma_f16 v32, 0xb1e1, v71, v32 op_sel:[0,0,1] op_sel_hi:[0,1,0]
	v_add_f16_e32 v16, v34, v16
	v_pk_add_f16 v6, v6, v24
	v_pk_add_f16 v24, v54, v26 op_sel:[1,0] op_sel_hi:[0,1]
	v_pk_fma_f16 v26, 0x35c8, v70, v36 op_sel:[0,0,1] op_sel_hi:[0,1,0] neg_lo:[0,1,0] neg_hi:[0,1,0]
	v_pk_fma_f16 v36, 0x35c8, v70, v36 op_sel:[0,0,1] op_sel_hi:[0,1,0]
	v_pk_add_f16 v32, v54, v32 op_sel:[1,0] op_sel_hi:[0,1]
	v_pk_mul_f16 v70, 0xbacd, v50 op_sel_hi:[0,1]
	v_pk_add_f16 v6, v6, v22
	v_pk_add_f16 v22, v26, v24
	v_mul_f16_sdwa v34, v100, v48 dst_sel:DWORD dst_unused:UNUSED_PAD src0_sel:WORD_1 src1_sel:DWORD
	v_pk_add_f16 v24, v36, v32
	v_pk_fma_f16 v26, 0xb836, v73, v70 op_sel:[0,0,1] op_sel_hi:[0,1,0] neg_lo:[0,1,0] neg_hi:[0,1,0]
	v_pk_fma_f16 v32, 0xb836, v73, v70 op_sel:[0,0,1] op_sel_hi:[0,1,0]
	v_pk_mul_f16 v36, 0x39e9, v53 op_sel_hi:[0,1]
	v_mul_f16_e32 v70, 0xbbb2, v100
	v_pk_add_f16 v6, v6, v14
	v_pk_add_f16 v14, v26, v22
	;; [unrolled: 1-line block ×3, first 2 shown]
	v_pk_fma_f16 v24, 0x3964, v76, v36 op_sel:[0,0,1] op_sel_hi:[0,1,0] neg_lo:[0,1,0] neg_hi:[0,1,0]
	v_pk_fma_f16 v26, 0x3964, v76, v36 op_sel:[0,0,1] op_sel_hi:[0,1,0]
	v_pk_mul_f16 v32, 0xb8d2, v82 op_sel_hi:[0,1]
	v_fma_f16 v191, v92, 0xb461, -v34
	v_fmamk_f16 v36, v98, 0xb461, v70
	v_pk_add_f16 v6, v6, v12
	v_pk_add_f16 v12, v24, v14
	;; [unrolled: 1-line block ×3, first 2 shown]
	v_pk_fma_f16 v22, 0xba62, v146, v32 op_sel:[0,0,1] op_sel_hi:[0,1,0] neg_lo:[0,1,0] neg_hi:[0,1,0]
	v_pk_fma_f16 v24, 0xba62, v146, v32 op_sel:[0,0,1] op_sel_hi:[0,1,0]
	v_pk_mul_f16 v26, 0x3722, v86 op_sel_hi:[0,1]
	v_add_f16_e32 v16, v191, v16
	v_add_f16_e32 v28, v36, v28
	v_pk_add_f16 v6, v6, v10
	v_pk_add_f16 v10, v22, v12
	;; [unrolled: 1-line block ×3, first 2 shown]
	v_pk_fma_f16 v14, 0x3b29, v147, v26 op_sel:[0,0,1] op_sel_hi:[0,1,0] neg_lo:[0,1,0] neg_hi:[0,1,0]
	v_pk_fma_f16 v22, 0x3b29, v147, v26 op_sel:[0,0,1] op_sel_hi:[0,1,0]
	v_pk_mul_f16 v24, 0xb461, v89 op_sel_hi:[0,1]
	v_pack_b32_f16 v16, v16, v28
	v_pk_add_f16 v6, v6, v8
	v_pk_add_f16 v8, v14, v10
	;; [unrolled: 1-line block ×3, first 2 shown]
	v_pk_fma_f16 v12, 0xbbb2, v148, v24 op_sel:[0,0,1] op_sel_hi:[0,1,0] neg_lo:[0,1,0] neg_hi:[0,1,0]
	v_pk_fma_f16 v14, 0xbbb2, v148, v24 op_sel:[0,0,1] op_sel_hi:[0,1,0]
	ds_write2_b32 v95, v6, v16 offset1:7
	v_fmac_f16_e32 v186, 0xbacd, v47
	v_fmac_f16_e32 v154, 0xb461, v46
	v_pk_add_f16 v6, v12, v8
	v_pk_add_f16 v8, v14, v10
	v_fma_f16 v10, v64, 0xb8d2, -v149
	v_add_f16_e32 v12, v54, v157
	v_fma_f16 v14, v64, 0xbacd, -v180
	v_fma_f16 v16, v62, 0xb461, -v158
	v_add_f16_e32 v22, v54, v186
	v_add_f16_sdwa v10, v54, v10 dst_sel:DWORD dst_unused:UNUSED_PAD src0_sel:WORD_1 src1_sel:DWORD
	v_fmac_f16_e32 v156, 0x3722, v46
	v_add_f16_sdwa v14, v54, v14 dst_sel:DWORD dst_unused:UNUSED_PAD src0_sel:WORD_1 src1_sel:DWORD
	v_fma_f16 v24, v62, 0x3722, -v188
	v_add_f16_e32 v12, v154, v12
	v_add_f16_e32 v10, v16, v10
	;; [unrolled: 1-line block ×3, first 2 shown]
	v_fmac_f16_e32 v164, 0x3b76, v50
	v_fma_f16 v22, v60, 0x3b76, -v162
	v_fmac_f16_e32 v190, 0x2de8, v50
	v_add_f16_e32 v14, v24, v14
	v_fma_f16 v24, v60, 0x2de8, -v192
	v_add_f16_e32 v12, v164, v12
	v_add_f16_e32 v10, v22, v10
	;; [unrolled: 1-line block ×3, first 2 shown]
	v_fmac_f16_e32 v168, 0xbacd, v53
	v_fma_f16 v22, v106, 0xbacd, -v169
	v_fmac_f16_e32 v18, 0xb8d2, v53
	v_add_f16_e32 v14, v24, v14
	v_fma_f16 v24, v106, 0xb8d2, -v187
	v_add_f16_e32 v12, v168, v12
	v_add_f16_e32 v10, v22, v10
	;; [unrolled: 1-line block ×3, first 2 shown]
	v_fmac_f16_e32 v172, 0x2de8, v82
	v_fma_f16 v18, v109, 0x2de8, -v173
	v_pk_mul_f16 v26, 0x2de8, v92 op_sel_hi:[0,1]
	v_add_f16_e32 v14, v24, v14
	v_fmac_f16_e32 v189, 0x3b76, v82
	v_fma_f16 v22, v109, 0x3b76, -v193
	v_add_f16_e32 v12, v172, v12
	v_add_f16_e32 v10, v18, v10
	v_fmac_f16_e32 v177, 0x39e9, v86
	v_fma_f16 v18, v111, 0x39e9, -v175
	v_pk_fma_f16 v28, 0x3bf7, v100, v26 op_sel:[0,0,1] op_sel_hi:[0,1,0] neg_lo:[0,1,0] neg_hi:[0,1,0]
	v_pk_fma_f16 v24, 0x3bf7, v100, v26 op_sel:[0,0,1] op_sel_hi:[0,1,0]
	v_add_f16_e32 v16, v189, v16
	v_add_f16_e32 v14, v22, v14
	v_fmac_f16_e32 v30, 0xbbdd, v86
	v_fma_f16 v20, v111, 0xbbdd, -v20
	v_add_f16_e32 v12, v177, v12
	v_add_f16_e32 v10, v18, v10
	v_fmac_f16_e32 v181, 0xbbdd, v89
	v_fma_f16 v18, v102, 0xbbdd, -v182
	v_pk_add_f16 v6, v28, v6
	v_pk_add_f16 v8, v24, v8
	v_add_f16_e32 v16, v30, v16
	v_add_f16_e32 v14, v20, v14
	v_fmac_f16_e32 v161, 0x39e9, v89
	v_fma_f16 v20, v102, 0x39e9, -v194
	v_add_f16_e32 v12, v181, v12
	v_add_f16_e32 v10, v18, v10
	v_fmac_f16_e32 v183, 0x3722, v92
	v_fma_f16 v18, v98, 0x3722, -v185
	v_alignbit_b32 v22, v6, v8, 16
	v_add_f16_e32 v16, v161, v16
	v_add_f16_e32 v14, v20, v14
	v_fmac_f16_e32 v34, 0xb461, v92
	v_fma_f16 v20, v98, 0xb461, -v70
	v_alignbit_b32 v6, v8, v6, 16
	v_add_f16_e32 v8, v183, v12
	v_add_f16_e32 v10, v18, v10
	;; [unrolled: 1-line block ×4, first 2 shown]
	ds_write2_b32 v95, v6, v22 offset0:8 offset1:9
	v_fmac_f16_e32 v152, 0xb461, v47
	v_pack_b32_f16 v6, v8, v10
	v_fma_f16 v8, v64, 0x2de8, -v134
	v_pack_b32_f16 v10, v12, v14
	v_fma_f16 v14, v64, 0xb461, -v153
	v_fma_f16 v16, v62, 0xbbdd, -v133
	v_add_f16_e32 v18, v54, v152
	v_add_f16_sdwa v8, v54, v8 dst_sel:DWORD dst_unused:UNUSED_PAD src0_sel:WORD_1 src1_sel:DWORD
	v_fmac_f16_e32 v151, 0xbacd, v46
	v_add_f16_sdwa v14, v54, v14 dst_sel:DWORD dst_unused:UNUSED_PAD src0_sel:WORD_1 src1_sel:DWORD
	v_fma_f16 v20, v62, 0xbacd, -v155
	v_fma_f16 v24, v62, 0x2de8, -v63
	v_add_f16_e32 v8, v16, v8
	v_add_f16_e32 v16, v151, v18
	v_fma_f16 v18, v60, 0xb461, -v135
	v_add_f16_e32 v14, v20, v14
	v_fma_f16 v20, v60, 0x39e9, -v163
	v_fma_f16 v26, v62, 0xb8d2, -v119
	v_pk_add_f16 v22, v54, v67 op_sel:[1,0] op_sel_hi:[0,1]
	v_add_f16_e32 v8, v18, v8
	v_fma_f16 v18, v106, 0x3b76, -v137
	v_add_f16_e32 v14, v20, v14
	v_fma_f16 v20, v106, 0x3722, -v166
	v_fmac_f16_e32 v131, 0x2de8, v47
	v_fmac_f16_e32 v114, 0x3722, v47
	v_add_f16_e32 v8, v18, v8
	v_fma_f16 v18, v109, 0x3722, -v140
	v_add_f16_e32 v14, v20, v14
	v_fma_f16 v20, v109, 0xbbdd, -v171
	v_pk_add_f16 v22, v65, v22
	v_fmac_f16_e32 v56, 0x3b76, v47
	v_add_f16_e32 v8, v18, v8
	v_fma_f16 v18, v111, 0xbacd, -v143
	v_add_f16_e32 v14, v20, v14
	v_fma_f16 v20, v102, 0xb8d2, -v144
	v_add_f16_e32 v12, v54, v131
	v_fmac_f16_e32 v130, 0xbbdd, v46
	v_add_f16_e32 v8, v18, v8
	v_fma_f16 v18, v111, 0x2de8, -v176
	v_add_f16_e32 v28, v54, v114
	v_fmac_f16_e32 v115, 0xb8d2, v46
	v_pk_add_f16 v22, v105, v22
	v_add_f16_e32 v8, v20, v8
	v_fma_f16 v20, v98, 0x39e9, -v145
	v_add_f16_e32 v14, v18, v14
	v_fma_f16 v18, v102, 0x3b76, -v179
	v_fmac_f16_e32 v57, 0x39e9, v46
	v_add_f16_sdwa v34, v54, v59 dst_sel:DWORD dst_unused:UNUSED_PAD src0_sel:WORD_1 src1_sel:DWORD
	v_add_f16_e32 v8, v20, v8
	v_fma_f16 v20, v64, 0x39e9, -v66
	v_add_f16_e32 v14, v18, v14
	v_fma_f16 v18, v98, 0xb8d2, -v167
	v_add_f16_e32 v12, v130, v12
	v_fmac_f16_e32 v132, 0xb461, v50
	v_add_f16_sdwa v20, v54, v20 dst_sel:DWORD dst_unused:UNUSED_PAD src0_sel:WORD_1 src1_sel:DWORD
	v_fmac_f16_e32 v159, 0x39e9, v50
	v_add_f16_e32 v14, v18, v14
	v_fma_f16 v18, v64, 0x3722, -v120
	v_add_f16_e32 v28, v115, v28
	v_add_f16_e32 v20, v24, v20
	v_fma_f16 v24, v60, 0xb8d2, -v61
	v_fmac_f16_e32 v121, 0xbbdd, v50
	v_add_f16_sdwa v18, v54, v18 dst_sel:DWORD dst_unused:UNUSED_PAD src0_sel:WORD_1 src1_sel:DWORD
	v_pk_add_f16 v22, v104, v22
	v_fmac_f16_e32 v55, 0x3722, v50
	v_add_f16_e32 v20, v24, v20
	v_fma_f16 v24, v106, 0xbbdd, -v107
	v_add_f16_e32 v18, v26, v18
	v_fma_f16 v26, v60, 0xbbdd, -v124
	v_add_f16_e32 v34, v58, v34
	v_add_f16_e32 v12, v132, v12
	;; [unrolled: 1-line block ×3, first 2 shown]
	v_fma_f16 v24, v109, 0xbacd, -v110
	v_add_f16_e32 v18, v26, v18
	v_fma_f16 v26, v106, 0xb461, -v125
	v_fmac_f16_e32 v136, 0x3b76, v53
	v_add_f16_e32 v16, v159, v16
	v_add_f16_e32 v20, v24, v20
	v_fma_f16 v24, v111, 0xb461, -v112
	v_add_f16_e32 v18, v26, v18
	v_fma_f16 v26, v109, 0x39e9, -v127
	v_fmac_f16_e32 v165, 0x3722, v53
	v_add_f16_e32 v28, v121, v28
	v_add_f16_e32 v20, v24, v20
	;; [unrolled: 1-line block ×4, first 2 shown]
	v_fma_f16 v26, v111, 0x3b76, -v129
	v_fmac_f16_e32 v123, 0xb461, v53
	v_pk_add_f16 v22, v108, v22
	v_add_f16_e32 v24, v57, v24
	v_fma_f16 v30, v102, 0x3722, -v103
	v_add_f16_e32 v18, v26, v18
	v_fma_f16 v26, v102, 0x2de8, -v126
	v_pk_mul_f16 v36, 0x35c8b1e1, v100
	v_add_f16_e32 v24, v55, v24
	v_fmac_f16_e32 v81, 0x2de8, v53
	v_add_f16_e32 v34, v79, v34
	v_add_f16_e32 v12, v136, v12
	v_fmac_f16_e32 v138, 0x3722, v82
	v_add_f16_e32 v16, v165, v16
	v_fmac_f16_e32 v170, 0xbbdd, v82
	;; [unrolled: 2-line block ×3, first 2 shown]
	v_pk_add_f16 v22, v97, v22
	v_mul_f16_e32 v32, 0xb836, v100
	v_pack_b32_f16 v26, v26, v101
	v_bfi_b32 v18, 0xffff, v18, v36
	v_add_f16_e32 v24, v81, v24
	v_fmac_f16_e32 v84, 0xb461, v82
	v_add_f16_e32 v20, v30, v20
	v_add_f16_e32 v30, v80, v34
	;; [unrolled: 1-line block ×3, first 2 shown]
	v_fmac_f16_e32 v139, 0xbacd, v86
	v_add_f16_e32 v16, v170, v16
	v_fmac_f16_e32 v174, 0x2de8, v86
	v_add_f16_e32 v28, v118, v28
	v_bfi_b32 v32, 0xffff, v32, v22
	v_fmac_f16_e32 v116, 0x3b76, v86
	v_add_f16_e32 v24, v84, v24
	v_fmac_f16_e32 v88, 0xb8d2, v86
	v_pk_add_f16 v18, v26, v18
	v_add_f16_e32 v26, v83, v30
	v_add_f16_e32 v12, v139, v12
	v_fmac_f16_e32 v141, 0xb8d2, v89
	v_add_f16_e32 v16, v174, v16
	v_fmac_f16_e32 v178, 0x3b76, v89
	v_pk_add_f16 v32, v128, v32 neg_lo:[0,1] neg_hi:[0,1]
	v_pk_add_f16 v22, v96, v22
	v_add_f16_e32 v28, v116, v28
	v_fmac_f16_e32 v117, 0x2de8, v89
	v_add_f16_e32 v24, v88, v24
	v_fmac_f16_e32 v91, 0xbacd, v89
	v_add_f16_e32 v26, v87, v26
	v_add_f16_e32 v12, v141, v12
	v_add_f16_e32 v16, v178, v16
	v_fmac_f16_e32 v142, 0x39e9, v92
	v_fmac_f16_e32 v184, 0xb8d2, v92
	v_fma_f16 v34, v98, 0x3b76, -v99
	v_bfi_b32 v22, 0xffff, v32, v22
	v_add_f16_e32 v28, v117, v28
	v_fmac_f16_e32 v122, 0xbacd, v92
	v_add_f16_e32 v24, v91, v24
	v_fmac_f16_e32 v94, 0xbbdd, v92
	v_add_f16_e32 v26, v90, v26
	v_add_f16_e32 v12, v142, v12
	;; [unrolled: 1-line block ×4, first 2 shown]
	v_pk_add_f16 v18, v22, v18
	v_add_f16_e32 v22, v122, v28
	v_add_f16_e32 v24, v94, v24
	v_add_f16_e32 v26, v93, v26
	v_pack_b32_f16 v8, v12, v8
	v_pack_b32_f16 v12, v16, v14
	v_alignbit_b32 v14, v20, v18, 16
	v_pack_b32_f16 v16, v22, v18
	v_pack_b32_f16 v18, v24, v26
	ds_write2_b32 v95, v160, v150 offset0:5 offset1:6
	ds_write2_b32 v95, v10, v6 offset0:10 offset1:11
	;; [unrolled: 1-line block ×4, first 2 shown]
	ds_write_b32 v95, v18 offset:64
	v_cmpx_gt_u32_e32 7, v0
	s_cbranch_execz .LBB0_14
; %bb.13:
	v_pk_add_f16 v6, v5, v19
	v_pk_add_f16 v22, v17, v7 neg_lo:[0,1] neg_hi:[0,1]
	v_pk_add_f16 v30, v7, v17
	v_pk_add_f16 v24, v11, v27
	v_pk_add_f16 v26, v19, v77 neg_lo:[0,1] neg_hi:[0,1]
	v_pk_add_f16 v6, v6, v17
	v_pk_add_f16 v17, v27, v11 neg_lo:[0,1] neg_hi:[0,1]
	;; [unrolled: 2-line block ×3, first 2 shown]
	v_pk_add_f16 v14, v25, v31
	v_pk_add_f16 v6, v6, v15
	v_mul_f16_e32 v76, 0xb836, v26
	v_lshrrev_b32_e32 v47, 16, v32
	v_pk_add_f16 v19, v15, v9 neg_lo:[0,1] neg_hi:[0,1]
	v_pk_add_f16 v28, v9, v15
	v_pk_add_f16 v6, v6, v27
	v_pk_add_f16 v10, v35, v23 neg_lo:[0,1] neg_hi:[0,1]
	v_pk_add_f16 v16, v23, v35
	v_mul_f16_e32 v73, 0x3b29, v22
	v_lshrrev_b32_e32 v46, 16, v30
	v_pk_add_f16 v27, v6, v29
	v_mul_i32_i24_e32 v34, 0x44, v4
	v_mul_f16_e32 v71, 0xbbf7, v19
	v_lshrrev_b32_e32 v36, 16, v28
	v_pk_add_f16 v15, v29, v13 neg_lo:[0,1] neg_hi:[0,1]
	v_pk_add_f16 v27, v27, v33
	v_pk_add_f16 v20, v13, v29
	v_pk_add_f16 v12, v33, v21 neg_lo:[0,1] neg_hi:[0,1]
	v_pk_add_f16 v18, v21, v33
	v_add3_u32 v6, 0, v34, v41
	v_pk_add_f16 v27, v27, v35
	v_fmamk_f16 v35, v47, 0xbacd, v76
	v_mul_f16_e32 v70, 0x3a62, v17
	v_lshrrev_b32_e32 v34, 16, v24
	v_mul_f16_sdwa v65, v26, v51 dst_sel:DWORD dst_unused:UNUSED_PAD src0_sel:WORD_1 src1_sel:DWORD
	v_pk_add_f16 v31, v27, v31
	v_add_f16_sdwa v35, v5, v35 dst_sel:DWORD dst_unused:UNUSED_PAD src0_sel:WORD_1 src1_sel:DWORD
	v_mul_f16_e32 v67, 0xb5c8, v15
	v_lshrrev_b32_e32 v33, 16, v20
	v_mul_f16_sdwa v60, v22, v113 dst_sel:DWORD dst_unused:UNUSED_PAD src0_sel:WORD_1 src1_sel:DWORD
	v_pk_add_f16 v31, v31, v25
	v_mul_f16_e32 v66, 0xb1e1, v12
	v_lshrrev_b32_e32 v29, 16, v18
	v_mul_f16_sdwa v56, v19, v43 dst_sel:DWORD dst_unused:UNUSED_PAD src0_sel:WORD_1 src1_sel:DWORD
	v_fma_f16 v50, v30, 0x3722, -v60
	v_pk_add_f16 v23, v31, v23
	v_fmamk_f16 v31, v46, 0x3722, v73
	v_mul_f16_e32 v64, 0x3964, v10
	v_lshrrev_b32_e32 v27, 16, v16
	v_mul_f16_sdwa v55, v17, v75 dst_sel:DWORD dst_unused:UNUSED_PAD src0_sel:WORD_1 src1_sel:DWORD
	v_pk_add_f16 v21, v23, v21
	v_fmamk_f16 v23, v36, 0x2de8, v71
	v_add_f16_e32 v31, v31, v35
	v_fma_f16 v35, v32, 0xbacd, -v65
	v_mul_f16_e32 v63, 0xbbb2, v8
	v_pk_add_f16 v13, v21, v13
	v_fmamk_f16 v21, v34, 0xb8d2, v70
	v_add_f16_e32 v23, v23, v31
	v_add_f16_e32 v31, v5, v35
	v_fma_f16 v35, v28, 0x2de8, -v56
	v_pk_add_f16 v11, v13, v11
	v_fmamk_f16 v13, v33, 0x3b76, v67
	v_add_f16_e32 v21, v21, v23
	v_add_f16_e32 v23, v50, v31
	v_lshrrev_b32_e32 v25, 16, v14
	v_pk_add_f16 v9, v11, v9
	v_fmamk_f16 v11, v29, 0xbbdd, v66
	v_add_f16_e32 v13, v13, v21
	v_fma_f16 v31, v24, 0xb8d2, -v55
	v_add_f16_e32 v21, v35, v23
	v_pk_add_f16 v7, v9, v7
	v_mul_f16_sdwa v58, v15, v44 dst_sel:DWORD dst_unused:UNUSED_PAD src0_sel:WORD_1 src1_sel:DWORD
	v_fmamk_f16 v9, v27, 0x39e9, v64
	v_add_f16_e32 v11, v11, v13
	v_add_f16_e32 v13, v31, v21
	v_mul_f16_sdwa v59, v12, v52 dst_sel:DWORD dst_unused:UNUSED_PAD src0_sel:WORD_1 src1_sel:DWORD
	v_fma_f16 v21, v20, 0x3b76, -v58
	v_mul_f16_e32 v88, 0xba62, v26
	v_add_f16_e32 v9, v9, v11
	v_fmamk_f16 v11, v25, 0xb461, v63
	v_pk_add_f16 v7, v7, v77
	v_add_f16_e32 v13, v21, v13
	v_fma_f16 v21, v18, 0xbbdd, -v59
	v_mul_f16_sdwa v61, v10, v72 dst_sel:DWORD dst_unused:UNUSED_PAD src0_sel:WORD_1 src1_sel:DWORD
	v_add_f16_e32 v9, v11, v9
	v_fmamk_f16 v11, v47, 0xb8d2, v88
	v_mul_f16_e32 v77, 0x3bb2, v22
	v_add_f16_e32 v13, v21, v13
	v_fma_f16 v21, v16, 0x39e9, -v61
	v_mul_f16_sdwa v62, v8, v48 dst_sel:DWORD dst_unused:UNUSED_PAD src0_sel:WORD_1 src1_sel:DWORD
	v_add_f16_sdwa v11, v5, v11 dst_sel:DWORD dst_unused:UNUSED_PAD src0_sel:WORD_1 src1_sel:DWORD
	v_fmamk_f16 v23, v46, 0xb461, v77
	v_mul_f16_e32 v79, 0xb5c8, v19
	v_add_f16_e32 v13, v21, v13
	v_fma_f16 v21, v14, 0xb461, -v62
	v_mul_f16_sdwa v104, v26, v49 dst_sel:DWORD dst_unused:UNUSED_PAD src0_sel:WORD_1 src1_sel:DWORD
	v_add_f16_e32 v23, v23, v11
	v_fmamk_f16 v31, v36, 0x3b76, v79
	v_mul_f16_e32 v93, 0xb836, v17
	v_add_f16_e32 v11, v21, v13
	v_fma_f16 v13, v32, 0xb8d2, -v104
	v_mul_f16_sdwa v105, v22, v69 dst_sel:DWORD dst_unused:UNUSED_PAD src0_sel:WORD_1 src1_sel:DWORD
	v_add_f16_e32 v21, v31, v23
	;; [unrolled: 6-line block ×7, first 2 shown]
	v_fmamk_f16 v21, v47, 0xb461, v111
	v_mul_f16_e32 v112, 0x3836, v22
	v_add_f16_e32 v23, v35, v31
	v_fma_f16 v31, v16, 0xbbdd, -v109
	v_mul_f16_sdwa v82, v8, v113 dst_sel:DWORD dst_unused:UNUSED_PAD src0_sel:WORD_1 src1_sel:DWORD
	v_add_f16_sdwa v21, v5, v21 dst_sel:DWORD dst_unused:UNUSED_PAD src0_sel:WORD_1 src1_sel:DWORD
	v_fmamk_f16 v35, v46, 0xbacd, v112
	v_mul_f16_e32 v99, 0x3964, v19
	v_add_f16_e32 v23, v31, v23
	v_fma_f16 v31, v14, 0x3722, -v82
	v_mul_f16_sdwa v83, v26, v48 dst_sel:DWORD dst_unused:UNUSED_PAD src0_sel:WORD_1 src1_sel:DWORD
	v_add_f16_e32 v35, v35, v21
	v_fmamk_f16 v50, v36, 0x39e9, v99
	v_mul_f16_e32 v81, 0xbb29, v17
	v_add_f16_e32 v21, v31, v23
	v_fma_f16 v23, v32, 0xb461, -v83
	v_mul_f16_sdwa v84, v22, v78 dst_sel:DWORD dst_unused:UNUSED_PAD src0_sel:WORD_1 src1_sel:DWORD
	v_add_f16_e32 v31, v50, v35
	;; [unrolled: 6-line block ×7, first 2 shown]
	v_fmamk_f16 v31, v47, 0x2de8, v113
	v_mul_f16_e32 v114, 0xb1e1, v22
	v_add_f16_e32 v35, v53, v50
	v_fma_f16 v50, v16, 0x3b76, -v102
	v_mul_f16_sdwa v103, v8, v49 dst_sel:DWORD dst_unused:UNUSED_PAD src0_sel:WORD_1 src1_sel:DWORD
	v_add_f16_sdwa v31, v5, v31 dst_sel:DWORD dst_unused:UNUSED_PAD src0_sel:WORD_1 src1_sel:DWORD
	v_fmamk_f16 v53, v46, 0xbbdd, v114
	v_mul_f16_e32 v115, 0x3bb2, v19
	v_add_f16_e32 v35, v50, v35
	v_fma_f16 v50, v14, 0xb8d2, -v103
	v_mul_f16_e32 v117, 0x35c8, v17
	v_add_f16_e32 v53, v53, v31
	v_fmamk_f16 v54, v36, 0xb461, v115
	v_mul_f16_sdwa v116, v26, v43 dst_sel:DWORD dst_unused:UNUSED_PAD src0_sel:WORD_1 src1_sel:DWORD
	v_add_f16_e32 v31, v50, v35
	v_mul_f16_e32 v118, 0xbb29, v15
	v_mul_f16_sdwa v85, v22, v52 dst_sel:DWORD dst_unused:UNUSED_PAD src0_sel:WORD_1 src1_sel:DWORD
	v_add_f16_e32 v50, v54, v53
	v_fmamk_f16 v53, v34, 0x3b76, v117
	v_fma_f16 v35, v32, 0x2de8, -v116
	v_mul_f16_e32 v119, 0xb836, v12
	v_fma_f16 v54, v30, 0xbbdd, -v85
	v_mul_f16_sdwa v91, v19, v69 dst_sel:DWORD dst_unused:UNUSED_PAD src0_sel:WORD_1 src1_sel:DWORD
	v_add_f16_e32 v50, v53, v50
	v_fmamk_f16 v53, v33, 0x3722, v118
	v_add_f16_e32 v35, v5, v35
	v_mul_f16_e32 v120, 0x3a62, v10
	v_mul_f16_sdwa v74, v17, v74 dst_sel:DWORD dst_unused:UNUSED_PAD src0_sel:WORD_1 src1_sel:DWORD
	v_mul_f16_e32 v121, 0xbb29, v26
	v_add_f16_e32 v50, v53, v50
	v_fmamk_f16 v53, v29, 0xbacd, v119
	v_add_f16_e32 v35, v54, v35
	v_fma_f16 v54, v28, 0xb461, -v91
	v_mul_f16_sdwa v92, v15, v42 dst_sel:DWORD dst_unused:UNUSED_PAD src0_sel:WORD_1 src1_sel:DWORD
	v_mul_f16_e32 v122, 0xba62, v22
	v_add_f16_e32 v50, v53, v50
	v_fmamk_f16 v53, v27, 0xb8d2, v120
	v_add_f16_e32 v35, v54, v35
	v_fma_f16 v54, v24, 0x3b76, -v74
	v_mul_f16_sdwa v110, v12, v51 dst_sel:DWORD dst_unused:UNUSED_PAD src0_sel:WORD_1 src1_sel:DWORD
	v_fmamk_f16 v57, v46, 0xb8d2, v122
	v_add_f16_e32 v50, v53, v50
	v_fmamk_f16 v53, v47, 0x3722, v121
	v_add_f16_e32 v35, v54, v35
	v_fma_f16 v54, v20, 0x3722, -v92
	v_mul_f16_e32 v123, 0x31e1, v19
	v_mul_f16_sdwa v75, v10, v75 dst_sel:DWORD dst_unused:UNUSED_PAD src0_sel:WORD_1 src1_sel:DWORD
	v_add_f16_sdwa v53, v5, v53 dst_sel:DWORD dst_unused:UNUSED_PAD src0_sel:WORD_1 src1_sel:DWORD
	v_mul_f16_sdwa v127, v26, v42 dst_sel:DWORD dst_unused:UNUSED_PAD src0_sel:WORD_1 src1_sel:DWORD
	v_add_f16_e32 v35, v54, v35
	v_fma_f16 v54, v18, 0xbacd, -v110
	v_mul_f16_e32 v125, 0x3bb2, v17
	v_add_f16_e32 v53, v57, v53
	v_fmamk_f16 v57, v36, 0xbbdd, v123
	v_mul_f16_sdwa v130, v22, v49 dst_sel:DWORD dst_unused:UNUSED_PAD src0_sel:WORD_1 src1_sel:DWORD
	v_add_f16_e32 v35, v54, v35
	v_fma_f16 v54, v16, 0xb8d2, -v75
	v_mul_f16_e32 v128, 0x3964, v15
	v_add_f16_e32 v53, v57, v53
	v_fma_f16 v57, v32, 0x3722, -v127
	v_fma_f16 v132, v30, 0xb8d2, -v130
	v_add_f16_e32 v35, v54, v35
	v_fmamk_f16 v54, v34, 0xb461, v125
	v_mul_f16_sdwa v133, v19, v68 dst_sel:DWORD dst_unused:UNUSED_PAD src0_sel:WORD_1 src1_sel:DWORD
	v_add_f16_e32 v57, v5, v57
	v_mul_f16_sdwa v129, v8, v72 dst_sel:DWORD dst_unused:UNUSED_PAD src0_sel:WORD_1 src1_sel:DWORD
	v_mul_f16_e32 v131, 0xb5c8, v12
	v_add_f16_e32 v53, v54, v53
	v_fmamk_f16 v54, v33, 0x39e9, v128
	v_add_f16_e32 v57, v132, v57
	v_fma_f16 v68, v28, 0xbbdd, -v133
	v_mul_f16_sdwa v69, v17, v69 dst_sel:DWORD dst_unused:UNUSED_PAD src0_sel:WORD_1 src1_sel:DWORD
	v_mul_f16_e32 v124, 0x3964, v8
	v_add_f16_e32 v53, v54, v53
	v_fmamk_f16 v54, v29, 0x3b76, v131
	v_mul_f16_e32 v134, 0xbbf7, v10
	v_fma_f16 v132, v14, 0x39e9, -v129
	v_add_f16_e32 v57, v68, v57
	v_fma_f16 v68, v24, 0xb461, -v69
	v_mul_f16_sdwa v72, v15, v72 dst_sel:DWORD dst_unused:UNUSED_PAD src0_sel:WORD_1 src1_sel:DWORD
	v_fmamk_f16 v126, v25, 0x39e9, v124
	v_add_f16_e32 v135, v54, v53
	v_fmamk_f16 v136, v27, 0x2de8, v134
	v_add_f16_e32 v54, v132, v35
	v_add_f16_e32 v57, v68, v57
	v_fma_f16 v68, v20, 0x39e9, -v72
	v_mul_f16_sdwa v132, v12, v44 dst_sel:DWORD dst_unused:UNUSED_PAD src0_sel:WORD_1 src1_sel:DWORD
	v_add_f16_e32 v53, v126, v50
	v_add_f16_e32 v126, v136, v135
	v_mul_f16_sdwa v136, v10, v43 dst_sel:DWORD dst_unused:UNUSED_PAD src0_sel:WORD_1 src1_sel:DWORD
	v_add_f16_e32 v57, v68, v57
	v_fma_f16 v68, v18, 0x3b76, -v132
	v_mul_f16_sdwa v141, v8, v51 dst_sel:DWORD dst_unused:UNUSED_PAD src0_sel:WORD_1 src1_sel:DWORD
	v_mul_f16_sdwa v163, v26, v44 dst_sel:DWORD dst_unused:UNUSED_PAD src0_sel:WORD_1 src1_sel:DWORD
	v_fma_f16 v140, v16, 0x2de8, -v136
	v_mul_f16_sdwa v45, v22, v45 dst_sel:DWORD dst_unused:UNUSED_PAD src0_sel:WORD_1 src1_sel:DWORD
	v_add_f16_e32 v68, v68, v57
	v_fma_f16 v145, v14, 0xbacd, -v141
	v_fma_f16 v76, v47, 0xbacd, -v76
	v_mul_f16_sdwa v42, v19, v42 dst_sel:DWORD dst_unused:UNUSED_PAD src0_sel:WORD_1 src1_sel:DWORD
	v_fma_f16 v73, v46, 0x3722, -v73
	v_add_f16_e32 v140, v140, v68
	v_pk_mul_f16 v68, 0x3b7639e9, v32
	v_add_f16_sdwa v76, v5, v76 dst_sel:DWORD dst_unused:UNUSED_PAD src0_sel:WORD_1 src1_sel:DWORD
	v_mul_f16_sdwa v43, v17, v43 dst_sel:DWORD dst_unused:UNUSED_PAD src0_sel:WORD_1 src1_sel:DWORD
	v_fma_f16 v71, v36, 0x2de8, -v71
	v_add_f16_e32 v140, v145, v140
	v_pk_fma_f16 v143, 0xb964b5c8, v26, v68 op_sel:[0,0,1] op_sel_hi:[1,1,0]
	v_pk_fma_f16 v144, 0xb964b5c8, v26, v68 op_sel:[0,0,1] op_sel_hi:[1,1,0] neg_lo:[0,1,0] neg_hi:[0,1,0]
	v_pk_mul_f16 v68, 0x39e92de8, v30
	v_fma_f16 v145, v32, 0x3b76, -v163
	v_add_f16_e32 v73, v73, v76
	v_mul_f16_sdwa v48, v15, v48 dst_sel:DWORD dst_unused:UNUSED_PAD src0_sel:WORD_1 src1_sel:DWORD
	v_bfi_b32 v146, 0xffff, v143, v144
	v_pk_fma_f16 v147, 0xbbf7b964, v22, v68 op_sel:[0,0,1] op_sel_hi:[1,1,0]
	v_pk_fma_f16 v148, 0xbbf7b964, v22, v68 op_sel:[0,0,1] op_sel_hi:[1,1,0] neg_lo:[0,1,0] neg_hi:[0,1,0]
	v_pk_mul_f16 v68, 0x3722b8d2, v28
	v_add_f16_e32 v145, v5, v145
	v_pk_add_f16 v146, v5, v146 op_sel:[1,0] op_sel_hi:[0,1]
	v_add_f16_e32 v71, v71, v73
	v_bfi_b32 v149, 0xffff, v147, v148
	v_pk_fma_f16 v150, 0xba62bb29, v19, v68 op_sel:[0,0,1] op_sel_hi:[1,1,0]
	v_pk_fma_f16 v151, 0xba62bb29, v19, v68 op_sel:[0,0,1] op_sel_hi:[1,1,0] neg_lo:[0,1,0] neg_hi:[0,1,0]
	v_pk_mul_f16 v68, 0x2de8bbdd, v24
	v_fma_f16 v70, v34, 0xb8d2, -v70
	v_pk_add_f16 v146, v149, v146
	v_mul_f16_sdwa v49, v12, v49 dst_sel:DWORD dst_unused:UNUSED_PAD src0_sel:WORD_1 src1_sel:DWORD
	v_bfi_b32 v149, 0xffff, v150, v151
	v_pk_fma_f16 v154, 0xb1e1bbf7, v17, v68 op_sel:[0,0,1] op_sel_hi:[1,1,0]
	v_pk_fma_f16 v155, 0xb1e1bbf7, v17, v68 op_sel:[0,0,1] op_sel_hi:[1,1,0] neg_lo:[0,1,0] neg_hi:[0,1,0]
	v_pk_mul_f16 v68, 0xb461bacd, v20
	v_add_f16_e32 v70, v70, v71
	v_pk_add_f16 v146, v149, v146
	v_fma_f16 v67, v33, 0x3b76, -v67
	v_bfi_b32 v149, 0xffff, v154, v155
	v_pk_fma_f16 v156, 0x3836bbb2, v15, v68 op_sel:[0,0,1] op_sel_hi:[1,1,0]
	v_pk_fma_f16 v157, 0x3836bbb2, v15, v68 op_sel:[0,0,1] op_sel_hi:[1,1,0] neg_lo:[0,1,0] neg_hi:[0,1,0]
	v_pk_mul_f16 v68, 0xb8d2b461, v18
	v_mul_f16_sdwa v51, v10, v51 dst_sel:DWORD dst_unused:UNUSED_PAD src0_sel:WORD_1 src1_sel:DWORD
	v_pk_add_f16 v146, v149, v146
	v_add_f16_e32 v67, v67, v70
	v_bfi_b32 v149, 0xffff, v156, v157
	v_pk_fma_f16 v158, 0x3bb2ba62, v12, v68 op_sel:[0,0,1] op_sel_hi:[1,1,0]
	v_pk_fma_f16 v159, 0x3bb2ba62, v12, v68 op_sel:[0,0,1] op_sel_hi:[1,1,0] neg_lo:[0,1,0] neg_hi:[0,1,0]
	v_fma_f16 v66, v29, 0xbbdd, -v66
	v_mul_f16_sdwa v52, v8, v52 dst_sel:DWORD dst_unused:UNUSED_PAD src0_sel:WORD_1 src1_sel:DWORD
	v_pk_add_f16 v146, v149, v146
	v_fmac_f16_e32 v65, 0xbacd, v32
	v_bfi_b32 v149, 0xffff, v158, v159
	v_add_f16_e32 v66, v66, v67
	v_fma_f16 v64, v27, 0x39e9, -v64
	v_fmac_f16_e32 v60, 0x3722, v30
	v_add_f16_e32 v65, v5, v65
	v_pk_add_f16 v44, v149, v146
	v_fma_f16 v149, v30, 0x39e9, -v45
	v_add_f16_e32 v64, v64, v66
	v_fma_f16 v63, v25, 0xb461, -v63
	v_add_f16_e32 v60, v60, v65
	v_fmac_f16_e32 v56, 0x2de8, v28
	v_add_f16_e32 v145, v149, v145
	v_fma_f16 v149, v28, 0x3722, -v42
	v_add_f16_e32 v63, v63, v64
	v_fmac_f16_e32 v104, 0xb8d2, v32
	v_fma_f16 v65, v46, 0xb461, -v77
	v_add_f16_e32 v56, v56, v60
	v_add_f16_e32 v76, v149, v145
	v_fma_f16 v145, v24, 0x2de8, -v43
	v_fmac_f16_e32 v55, 0xb8d2, v24
	v_add_f16_e32 v60, v5, v104
	v_fmac_f16_e32 v105, 0xb461, v30
	v_fmac_f16_e32 v58, 0x3b76, v20
	v_add_f16_e32 v73, v145, v76
	v_fma_f16 v76, v20, 0xb461, -v48
	v_add_f16_e32 v55, v55, v56
	v_add_f16_e32 v56, v105, v60
	v_fmac_f16_e32 v59, 0xbbdd, v18
	v_fmac_f16_e32 v61, 0x39e9, v16
	v_add_f16_e32 v71, v76, v73
	v_fma_f16 v73, v18, 0xb8d2, -v49
	v_add_f16_e32 v55, v58, v55
	v_fmac_f16_e32 v127, 0x3722, v32
	v_mul_f16_e32 v35, 0xbacd, v25
	v_mul_f16_e32 v135, 0xb964, v26
	v_add_f16_e32 v70, v73, v71
	v_fma_f16 v71, v16, 0xbacd, -v51
	v_add_f16_e32 v55, v59, v55
	v_fma_f16 v59, v29, 0x39e9, -v95
	v_fmac_f16_e32 v130, 0xb8d2, v30
	v_fmamk_f16 v137, v8, 0xb836, v35
	v_add_f16_e32 v67, v71, v70
	v_fma_f16 v70, v14, 0xbbdd, -v52
	v_add_f16_e32 v55, v61, v55
	v_fma_f16 v61, v46, 0xbacd, -v112
	v_fmamk_f16 v138, v47, 0x39e9, v135
	v_mul_f16_e32 v139, 0xbbf7, v22
	v_add_f16_e32 v66, v70, v67
	v_fma_f16 v67, v47, 0xb8d2, -v88
	v_fmac_f16_e32 v133, 0xbbdd, v28
	v_add_f16_e32 v57, v137, v126
	v_add_f16_sdwa v126, v5, v138 dst_sel:DWORD dst_unused:UNUSED_PAD src0_sel:WORD_1 src1_sel:DWORD
	v_fmamk_f16 v137, v46, 0x2de8, v139
	v_add_f16_sdwa v64, v5, v67 dst_sel:DWORD dst_unused:UNUSED_PAD src0_sel:WORD_1 src1_sel:DWORD
	v_mul_f16_e32 v138, 0xba62, v19
	v_fmac_f16_e32 v69, 0xb461, v24
	v_mul_f16_e32 v142, 0xb1e1, v17
	v_add_f16_e32 v126, v137, v126
	v_add_f16_e32 v64, v65, v64
	v_fma_f16 v65, v36, 0x3b76, -v79
	v_fmamk_f16 v137, v36, 0xb8d2, v138
	v_fmac_f16_e32 v72, 0x39e9, v20
	v_fmac_f16_e32 v132, 0x3b76, v18
	;; [unrolled: 1-line block ×3, first 2 shown]
	v_add_f16_e32 v60, v65, v64
	v_fma_f16 v64, v34, 0xbacd, -v93
	v_add_f16_e32 v65, v5, v127
	v_add_f16_e32 v126, v137, v126
	v_fmamk_f16 v137, v34, 0xbbdd, v142
	v_fmac_f16_e32 v163, 0x3b76, v32
	v_add_f16_e32 v58, v64, v60
	v_fma_f16 v60, v33, 0x2de8, -v94
	v_fma_f16 v64, v46, 0xbbdd, -v114
	v_add_f16_e32 v65, v130, v65
	v_add_f16_e32 v126, v137, v126
	v_mul_f16_e32 v137, 0x3836, v15
	v_add_f16_e32 v58, v60, v58
	v_fma_f16 v60, v47, 0xb461, -v111
	v_add_f16_e32 v65, v133, v65
	v_mul_f16_e32 v153, 0x3bb2, v12
	v_fmamk_f16 v152, v33, 0xbacd, v137
	v_add_f16_e32 v58, v59, v58
	v_fma_f16 v59, v27, 0xbbdd, -v96
	v_add_f16_sdwa v60, v5, v60 dst_sel:DWORD dst_unused:UNUSED_PAD src0_sel:WORD_1 src1_sel:DWORD
	v_add_f16_e32 v65, v69, v65
	v_fma_f16 v67, v46, 0xb8d2, -v122
	v_fma_f16 v46, v46, 0x2de8, -v139
	v_add_f16_e32 v58, v59, v58
	v_fma_f16 v59, v25, 0x3722, -v80
	v_add_f16_e32 v65, v72, v65
	v_fmac_f16_e32 v141, 0xbacd, v14
	v_add_f16_sdwa v69, v5, v144 dst_sel:DWORD dst_unused:UNUSED_PAD src0_sel:WORD_1 src1_sel:DWORD
	v_add_f16_e32 v70, v5, v163
	v_add_f16_e32 v58, v59, v58
	;; [unrolled: 1-line block ×3, first 2 shown]
	v_fma_f16 v60, v36, 0x39e9, -v99
	v_fma_f16 v61, v47, 0x2de8, -v113
	v_add_f16_e32 v65, v132, v65
	v_fmac_f16_e32 v45, 0x39e9, v30
	v_add_f16_e32 v126, v152, v126
	v_add_f16_e32 v59, v60, v59
	v_fma_f16 v60, v34, 0x3722, -v81
	v_add_f16_sdwa v61, v5, v61 dst_sel:DWORD dst_unused:UNUSED_PAD src0_sel:WORD_1 src1_sel:DWORD
	v_add_f16_e32 v65, v136, v65
	v_fmamk_f16 v152, v29, 0xb461, v153
	v_add_f16_e32 v45, v45, v70
	v_add_f16_e32 v59, v60, v59
	v_fma_f16 v60, v33, 0xbbdd, -v78
	v_add_f16_e32 v61, v64, v61
	v_fma_f16 v64, v36, 0xb461, -v115
	v_fmac_f16_e32 v42, 0x3722, v28
	v_add_f16_e32 v126, v152, v126
	v_add_f16_e32 v59, v60, v59
	v_fma_f16 v60, v29, 0x2de8, -v86
	v_add_f16_e32 v61, v64, v61
	v_fma_f16 v64, v34, 0x3b76, -v117
	v_mul_f16_e32 v152, 0x3b29, v10
	v_add_f16_e32 v42, v42, v45
	v_add_f16_e32 v59, v60, v59
	v_fma_f16 v60, v27, 0x3b76, -v89
	v_add_f16_e32 v61, v64, v61
	v_fma_f16 v64, v33, 0x3722, -v118
	v_fmac_f16_e32 v43, 0x2de8, v24
	v_fmamk_f16 v161, v27, 0x3722, v152
	v_add_f16_e32 v59, v60, v59
	v_fma_f16 v60, v25, 0xb8d2, -v97
	v_add_f16_e32 v61, v64, v61
	v_fma_f16 v64, v29, 0xbacd, -v119
	v_mul_f16_e32 v162, 0x35c8, v8
	v_add_f16_e32 v42, v43, v42
	v_add_f16_e32 v59, v60, v59
	v_fmac_f16_e32 v48, 0xb461, v20
	v_add_f16_e32 v60, v64, v61
	v_fma_f16 v61, v27, 0xb8d2, -v120
	v_pk_mul_f16 v160, 0xbacd3722, v16
	v_add_f16_e32 v126, v161, v126
	v_fmamk_f16 v161, v25, 0x3b76, v162
	v_add_f16_e32 v42, v48, v42
	v_add_f16_e32 v60, v61, v60
	v_fma_f16 v61, v25, 0x39e9, -v124
	v_fmac_f16_e32 v49, 0xb8d2, v18
	v_pk_fma_f16 v68, 0x3b29b836, v10, v160 op_sel:[0,0,1] op_sel_hi:[1,1,0]
	v_pk_fma_f16 v160, 0x3b29b836, v10, v160 op_sel:[0,0,1] op_sel_hi:[1,1,0] neg_lo:[0,1,0] neg_hi:[0,1,0]
	v_add_f16_e32 v126, v161, v126
	v_add_f16_e32 v60, v61, v60
	v_fma_f16 v61, v47, 0x3722, -v121
	v_fma_f16 v47, v47, 0x39e9, -v135
	v_pk_mul_f16 v161, 0xbbdd3b76, v14
	v_fmac_f16_e32 v51, 0xbacd, v16
	v_fmac_f16_e32 v83, 0xb461, v32
	v_add_f16_sdwa v61, v5, v61 dst_sel:DWORD dst_unused:UNUSED_PAD src0_sel:WORD_1 src1_sel:DWORD
	v_add_f16_sdwa v47, v5, v47 dst_sel:DWORD dst_unused:UNUSED_PAD src0_sel:WORD_1 src1_sel:DWORD
	v_pk_fma_f16 v149, 0x35c8b1e1, v8, v161 op_sel:[0,0,1] op_sel_hi:[1,1,0] neg_lo:[0,1,0] neg_hi:[0,1,0]
	v_fmac_f16_e32 v116, 0x2de8, v32
	v_fma_f16 v25, v25, 0x3b76, -v162
	v_add_f16_e32 v61, v67, v61
	v_fma_f16 v67, v36, 0xbbdd, -v123
	v_add_f16_e32 v46, v46, v47
	;; [unrolled: 2-line block ×3, first 2 shown]
	v_add_f16_e32 v65, v148, v69
	v_add_f16_e32 v61, v67, v61
	v_fma_f16 v67, v34, 0xb461, -v125
	v_add_f16_e32 v36, v36, v46
	v_fma_f16 v34, v34, 0xbbdd, -v142
	v_pk_add_f16 v46, v5, v143 op_sel:[1,0] op_sel_hi:[0,1]
	v_add_f16_e32 v65, v151, v65
	v_add_f16_e32 v61, v67, v61
	v_fma_f16 v67, v33, 0x39e9, -v128
	v_add_f16_e32 v34, v34, v36
	v_fma_f16 v33, v33, 0xbacd, -v137
	v_pk_add_f16 v36, v147, v46
	v_add_f16_e32 v45, v155, v65
	v_add_f16_e32 v61, v67, v61
	v_fma_f16 v67, v29, 0x3b76, -v131
	v_add_f16_e32 v33, v33, v34
	v_fma_f16 v29, v29, 0xb461, -v153
	v_pk_add_f16 v34, v150, v36
	;; [unrolled: 6-line block ×3, first 2 shown]
	v_add_f16_e32 v34, v159, v36
	v_add_f16_e32 v36, v49, v42
	v_fmac_f16_e32 v52, 0xbbdd, v14
	v_add_f16_e32 v27, v27, v29
	v_pk_add_f16 v29, v156, v33
	v_add_f16_e32 v33, v160, v34
	v_add_f16_e32 v34, v51, v36
	v_pk_mul_f16 v32, 0xbbdd, v32 op_sel_hi:[0,1]
	v_fmac_f16_e32 v62, 0xb461, v14
	v_fmac_f16_e32 v84, 0xbacd, v30
	;; [unrolled: 1-line block ×3, first 2 shown]
	v_add_f16_e32 v25, v25, v27
	v_pk_add_f16 v27, v158, v29
	v_add_f16_e32 v29, v149, v33
	v_add_f16_e32 v33, v52, v34
	v_pk_fma_f16 v34, 0xb1e1, v26, v32 op_sel:[0,0,1] op_sel_hi:[0,1,0] neg_lo:[0,1,0] neg_hi:[0,1,0]
	v_pk_mul_f16 v30, 0x3b76, v30 op_sel_hi:[0,1]
	v_pk_fma_f16 v26, 0xb1e1, v26, v32 op_sel:[0,0,1] op_sel_hi:[0,1,0]
	v_fmac_f16_e32 v106, 0x3b76, v28
	v_add_f16_e32 v55, v62, v55
	v_add_f16_e32 v62, v5, v83
	v_fmac_f16_e32 v87, 0x39e9, v28
	v_add_f16_e32 v64, v5, v116
	v_fmac_f16_e32 v91, 0xb461, v28
	v_pk_add_f16 v34, v5, v34 op_sel:[1,0] op_sel_hi:[0,1]
	v_pk_fma_f16 v42, 0x35c8, v22, v30 op_sel:[0,0,1] op_sel_hi:[0,1,0] neg_lo:[0,1,0] neg_hi:[0,1,0]
	v_pk_mul_f16 v28, 0xbacd, v28 op_sel_hi:[0,1]
	v_pk_add_f16 v5, v5, v26 op_sel:[1,0] op_sel_hi:[0,1]
	v_pk_fma_f16 v22, 0x35c8, v22, v30 op_sel:[0,0,1] op_sel_hi:[0,1,0]
	v_fmac_f16_e32 v107, 0xbacd, v24
	v_fmac_f16_e32 v90, 0x3722, v24
	;; [unrolled: 1-line block ×3, first 2 shown]
	v_pk_add_f16 v26, v42, v34
	v_pk_fma_f16 v30, 0xb836, v19, v28 op_sel:[0,0,1] op_sel_hi:[0,1,0] neg_lo:[0,1,0] neg_hi:[0,1,0]
	v_pk_mul_f16 v24, 0x39e9, v24 op_sel_hi:[0,1]
	v_pk_add_f16 v5, v22, v5
	v_pk_fma_f16 v19, 0xb836, v19, v28 op_sel:[0,0,1] op_sel_hi:[0,1,0]
	v_add_f16_e32 v62, v84, v62
	v_add_f16_e32 v64, v85, v64
	v_fmac_f16_e32 v108, 0x2de8, v20
	v_fmac_f16_e32 v98, 0xbbdd, v20
	;; [unrolled: 1-line block ×3, first 2 shown]
	v_pk_add_f16 v26, v30, v26
	v_pk_fma_f16 v28, 0x3964, v17, v24 op_sel:[0,0,1] op_sel_hi:[0,1,0] neg_lo:[0,1,0] neg_hi:[0,1,0]
	v_pk_mul_f16 v20, 0xb8d2, v20 op_sel_hi:[0,1]
	v_pk_add_f16 v5, v19, v5
	v_pk_fma_f16 v17, 0x3964, v17, v24 op_sel:[0,0,1] op_sel_hi:[0,1,0]
	v_add_f16_e32 v56, v106, v56
	v_add_f16_e32 v62, v87, v62
	;; [unrolled: 1-line block ×3, first 2 shown]
	v_fmac_f16_e32 v100, 0x39e9, v18
	v_fmac_f16_e32 v101, 0x2de8, v18
	v_fmac_f16_e32 v110, 0xbacd, v18
	v_pack_b32_f16 v22, v54, v53
	v_pack_b32_f16 v19, v140, v57
	v_pk_add_f16 v24, v28, v26
	v_pk_fma_f16 v26, 0xba62, v15, v20 op_sel:[0,0,1] op_sel_hi:[0,1,0] neg_lo:[0,1,0] neg_hi:[0,1,0]
	v_pk_mul_f16 v18, 0x3722, v18 op_sel_hi:[0,1]
	v_pk_add_f16 v5, v17, v5
	v_pk_fma_f16 v15, 0xba62, v15, v20 op_sel:[0,0,1] op_sel_hi:[0,1,0]
	v_add_f16_e32 v56, v107, v56
	v_add_f16_e32 v62, v90, v62
	v_add_f16_e32 v64, v74, v64
	v_mul_f16_e32 v50, 0xb836, v8
	v_bfi_b32 v146, 0xffff, v68, v160
	v_fmac_f16_e32 v109, 0xbbdd, v16
	v_fmac_f16_e32 v102, 0x3b76, v16
	;; [unrolled: 1-line block ×3, first 2 shown]
	ds_write2_b32 v6, v19, v22 offset0:3 offset1:4
	v_pk_add_f16 v17, v26, v24
	v_pk_fma_f16 v19, 0x3b29, v12, v18 op_sel:[0,0,1] op_sel_hi:[0,1,0] neg_lo:[0,1,0] neg_hi:[0,1,0]
	v_pk_mul_f16 v16, 0xb461, v16 op_sel_hi:[0,1]
	v_pk_add_f16 v5, v15, v5
	v_pk_fma_f16 v12, 0x3b29, v12, v18 op_sel:[0,0,1] op_sel_hi:[0,1,0]
	v_pk_fma_f16 v164, 0x35c8b1e1, v8, v161 op_sel:[0,0,1] op_sel_hi:[1,1,0]
	v_add_f16_e32 v56, v108, v56
	v_add_f16_e32 v62, v98, v62
	;; [unrolled: 1-line block ×3, first 2 shown]
	v_pk_add_f16 v146, v146, v44
	v_pk_mul_f16 v44, 0x35c8b1e1, v8
	v_fmac_f16_e32 v82, 0x3722, v14
	v_fmac_f16_e32 v103, 0xb8d2, v14
	;; [unrolled: 1-line block ×3, first 2 shown]
	v_pk_add_f16 v15, v19, v17
	v_pk_fma_f16 v17, 0xbbb2, v10, v16 op_sel:[0,0,1] op_sel_hi:[0,1,0] neg_lo:[0,1,0] neg_hi:[0,1,0]
	v_pk_mul_f16 v14, 0x2de8, v14 op_sel_hi:[0,1]
	v_pk_add_f16 v5, v12, v5
	v_pk_fma_f16 v10, 0xbbb2, v10, v16 op_sel:[0,0,1] op_sel_hi:[0,1,0]
	v_bfi_b32 v16, 0xffff, v50, v27
	v_bfi_b32 v145, 0xffff, v164, v149
	v_add_f16_e32 v56, v100, v56
	v_add_f16_e32 v62, v101, v62
	;; [unrolled: 1-line block ×3, first 2 shown]
	v_pk_add_f16 v15, v17, v15
	v_pk_fma_f16 v17, 0x3bf7, v8, v14 op_sel:[0,0,1] op_sel_hi:[0,1,0] neg_lo:[0,1,0] neg_hi:[0,1,0]
	v_pk_add_f16 v5, v10, v5
	v_pk_fma_f16 v8, 0x3bf7, v8, v14 op_sel:[0,0,1] op_sel_hi:[0,1,0]
	v_pk_add_f16 v10, v35, v16 neg_lo:[0,1] neg_hi:[0,1]
	v_pk_add_f16 v14, v68, v27
	v_pack_b32_f16 v16, v67, v161
	v_bfi_b32 v18, 0xffff, v61, v44
	v_pk_add_f16 v76, v145, v146
	v_add_f16_e32 v56, v109, v56
	v_add_f16_e32 v62, v102, v62
	;; [unrolled: 1-line block ×3, first 2 shown]
	v_pk_add_f16 v5, v8, v5
	v_bfi_b32 v8, 0xffff, v10, v14
	v_pk_add_f16 v10, v16, v18
	v_alignbit_b32 v36, v126, v76, 16
	v_pack_b32_f16 v32, v66, v76
	v_pack_b32_f16 v13, v21, v13
	;; [unrolled: 1-line block ×4, first 2 shown]
	v_pk_add_f16 v11, v17, v15
	v_add_f16_e32 v56, v82, v56
	v_add_f16_e32 v62, v103, v62
	;; [unrolled: 1-line block ×3, first 2 shown]
	v_pk_add_f16 v8, v8, v10
	ds_write2_b32 v6, v32, v36 offset0:1 offset1:2
	ds_write2_b32 v6, v12, v13 offset0:5 offset1:6
	ds_write2_b32 v6, v7, v9 offset1:7
	v_alignbit_b32 v7, v11, v5, 16
	v_alignbit_b32 v5, v5, v11, 16
	v_pack_b32_f16 v9, v56, v58
	v_pack_b32_f16 v10, v55, v63
	;; [unrolled: 1-line block ×4, first 2 shown]
	v_alignbit_b32 v13, v25, v8, 16
	v_pack_b32_f16 v8, v47, v8
	v_pack_b32_f16 v14, v33, v29
	ds_write2_b32 v6, v5, v7 offset0:8 offset1:9
	ds_write2_b32 v6, v10, v9 offset0:10 offset1:11
	;; [unrolled: 1-line block ×4, first 2 shown]
	ds_write_b32 v6, v14 offset:64
.LBB0_14:
	s_or_b32 exec_lo, exec_lo, s1
	v_lshlrev_b32_e32 v5, 1, v0
	v_mov_b32_e32 v6, 0
	s_waitcnt lgkmcnt(0)
	s_barrier
	buffer_gl0_inv
	v_add_nc_u16 v9, v0, 0x44
	v_lshlrev_b64 v[7:8], 2, v[5:6]
	v_add_nc_u16 v5, v0, 34
	v_add_nc_u16 v11, v0, 0x55
	;; [unrolled: 1-line block ×3, first 2 shown]
	v_and_b32_e32 v17, 0xff, v9
	v_add_nc_u16 v15, v0, 0x77
	v_add_co_u32 v7, s0, s8, v7
	v_add_co_ci_u32_e64 v8, s0, s9, v8, s0
	v_and_b32_e32 v10, 0xff, v5
	v_and_b32_e32 v18, 0xff, v11
	v_mul_lo_u16 v17, 0xf1, v17
	global_load_dwordx2 v[13:14], v[7:8], off
	v_add_nc_u16 v8, v0, 51
	v_mul_lo_u16 v10, 0xf1, v10
	v_mul_lo_u16 v18, 0xf1, v18
	v_lshrrev_b16 v17, 12, v17
	v_and_b32_e32 v19, 0xff, v12
	v_and_b32_e32 v16, 0xff, v8
	v_lshrrev_b16 v10, 12, v10
	v_and_b32_e32 v20, 0xff, v15
	v_mul_lo_u16 v17, v17, 17
	v_mov_b32_e32 v7, 3
	v_mul_lo_u16 v16, 0xf1, v16
	v_mul_lo_u16 v10, v10, 17
	;; [unrolled: 1-line block ×4, first 2 shown]
	v_sub_nc_u16 v51, v9, v17
	v_lshrrev_b16 v16, 12, v16
	v_sub_nc_u16 v36, v5, v10
	v_lshrrev_b16 v5, 12, v18
	v_lshrrev_b16 v10, 12, v19
	;; [unrolled: 1-line block ×3, first 2 shown]
	v_mul_lo_u16 v16, v16, 17
	v_mov_b32_e32 v57, 2
	v_mul_lo_u16 v5, v5, 17
	v_mul_u32_u24_e32 v56, 7, v0
	s_mov_b32 s1, exec_lo
	v_sub_nc_u16 v50, v8, v16
	v_lshlrev_b32_sdwa v8, v7, v36 dst_sel:DWORD dst_unused:UNUSED_PAD src0_sel:DWORD src1_sel:BYTE_0
	v_sub_nc_u16 v52, v11, v5
	v_lshlrev_b32_sdwa v5, v7, v51 dst_sel:DWORD dst_unused:UNUSED_PAD src0_sel:DWORD src1_sel:BYTE_0
	v_lshlrev_b32_sdwa v36, v57, v36 dst_sel:DWORD dst_unused:UNUSED_PAD src0_sel:DWORD src1_sel:BYTE_0
	;; [unrolled: 1-line block ×3, first 2 shown]
	global_load_dwordx2 v[16:17], v8, s[8:9]
	v_lshlrev_b32_sdwa v50, v57, v50 dst_sel:DWORD dst_unused:UNUSED_PAD src0_sel:DWORD src1_sel:BYTE_0
	v_lshlrev_b32_sdwa v51, v57, v51 dst_sel:DWORD dst_unused:UNUSED_PAD src0_sel:DWORD src1_sel:BYTE_0
	v_add3_u32 v36, 0, v36, v41
	global_load_dwordx2 v[18:19], v9, s[8:9]
	v_mul_lo_u16 v9, v20, 17
	global_load_dwordx2 v[20:21], v5, s[8:9]
	v_mul_lo_u16 v8, v10, 17
	v_add3_u32 v50, 0, v50, v41
	v_lshlrev_b32_e32 v56, 2, v56
	v_sub_nc_u16 v54, v15, v9
	v_sub_nc_u16 v53, v12, v8
	v_lshlrev_b32_sdwa v8, v7, v52 dst_sel:DWORD dst_unused:UNUSED_PAD src0_sel:DWORD src1_sel:BYTE_0
	v_lshlrev_b32_sdwa v52, v57, v52 dst_sel:DWORD dst_unused:UNUSED_PAD src0_sel:DWORD src1_sel:BYTE_0
	;; [unrolled: 1-line block ×4, first 2 shown]
	s_clause 0x2
	global_load_dwordx2 v[22:23], v8, s[8:9]
	global_load_dwordx2 v[24:25], v5, s[8:9]
	;; [unrolled: 1-line block ×3, first 2 shown]
	ds_read_b32 v55, v37
	ds_read2_b32 v[28:29], v1 offset0:136 offset1:153
	ds_read2_b32 v[30:31], v40 offset0:16 offset1:33
	v_lshlrev_b32_e32 v5, 2, v4
	ds_read2_b32 v[11:12], v1 offset0:34 offset1:51
	ds_read2_b32 v[32:33], v1 offset0:170 offset1:187
	;; [unrolled: 1-line block ×9, first 2 shown]
	v_lshlrev_b32_sdwa v53, v57, v53 dst_sel:DWORD dst_unused:UNUSED_PAD src0_sel:DWORD src1_sel:BYTE_0
	v_add3_u32 v15, 0, v5, v41
	v_lshlrev_b32_sdwa v54, v57, v54 dst_sel:DWORD dst_unused:UNUSED_PAD src0_sel:DWORD src1_sel:BYTE_0
	v_mul_i32_i24_e32 v5, 7, v4
	v_add3_u32 v52, 0, v52, v41
	v_add3_u32 v53, 0, v53, v41
	ds_read_b32 v58, v15
	s_waitcnt vmcnt(0) lgkmcnt(0)
	s_barrier
	buffer_gl0_inv
	v_add3_u32 v54, 0, v54, v41
	v_lshrrev_b32_e32 v64, 16, v11
	v_lshrrev_b32_e32 v65, 16, v32
	;; [unrolled: 1-line block ×24, first 2 shown]
	v_add3_u32 v41, 0, v51, v41
	v_add_nc_u32_e32 v51, 0x200, v52
	v_add_nc_u32_e32 v57, 0x400, v53
	v_add_nc_u32_e32 v83, 0x400, v54
	v_mul_f16_sdwa v84, v60, v13 dst_sel:DWORD dst_unused:UNUSED_PAD src0_sel:DWORD src1_sel:WORD_1
	v_mul_f16_sdwa v85, v28, v13 dst_sel:DWORD dst_unused:UNUSED_PAD src0_sel:DWORD src1_sel:WORD_1
	;; [unrolled: 1-line block ×8, first 2 shown]
	v_fma_f16 v28, v28, v13, -v84
	v_fmac_f16_e32 v85, v60, v13
	v_fma_f16 v30, v30, v14, -v86
	v_fmac_f16_e32 v87, v61, v14
	;; [unrolled: 2-line block ×4, first 2 shown]
	v_add_f16_e32 v14, v55, v28
	v_add_f16_e32 v31, v28, v30
	;; [unrolled: 1-line block ×8, first 2 shown]
	v_sub_f16_e32 v60, v85, v87
	v_sub_f16_e32 v28, v28, v30
	;; [unrolled: 1-line block ×4, first 2 shown]
	v_add_f16_e32 v14, v14, v30
	v_fmac_f16_e32 v55, -0.5, v31
	v_add_f16_e32 v30, v61, v87
	v_fmac_f16_e32 v59, -0.5, v62
	v_add_f16_e32 v13, v63, v13
	v_fmac_f16_e32 v58, -0.5, v84
	v_fmac_f16_e32 v82, -0.5, v88
	v_mul_f16_sdwa v61, v65, v16 dst_sel:DWORD dst_unused:UNUSED_PAD src0_sel:DWORD src1_sel:WORD_1
	v_mul_f16_sdwa v62, v32, v16 dst_sel:DWORD dst_unused:UNUSED_PAD src0_sel:DWORD src1_sel:WORD_1
	v_mul_f16_sdwa v63, v66, v17 dst_sel:DWORD dst_unused:UNUSED_PAD src0_sel:DWORD src1_sel:WORD_1
	v_mul_f16_sdwa v84, v34, v17 dst_sel:DWORD dst_unused:UNUSED_PAD src0_sel:DWORD src1_sel:WORD_1
	v_add_f16_e32 v31, v86, v91
	v_mul_f16_sdwa v86, v68, v18 dst_sel:DWORD dst_unused:UNUSED_PAD src0_sel:DWORD src1_sel:WORD_1
	v_mul_f16_sdwa v87, v33, v18 dst_sel:DWORD dst_unused:UNUSED_PAD src0_sel:DWORD src1_sel:WORD_1
	v_mul_f16_sdwa v88, v69, v19 dst_sel:DWORD dst_unused:UNUSED_PAD src0_sel:DWORD src1_sel:WORD_1
	v_mul_f16_sdwa v89, v35, v19 dst_sel:DWORD dst_unused:UNUSED_PAD src0_sel:DWORD src1_sel:WORD_1
	v_mul_f16_sdwa v90, v71, v20 dst_sel:DWORD dst_unused:UNUSED_PAD src0_sel:DWORD src1_sel:WORD_1
	v_mul_f16_sdwa v91, v42, v20 dst_sel:DWORD dst_unused:UNUSED_PAD src0_sel:DWORD src1_sel:WORD_1
	v_mul_f16_sdwa v92, v72, v21 dst_sel:DWORD dst_unused:UNUSED_PAD src0_sel:DWORD src1_sel:WORD_1
	v_mul_f16_sdwa v93, v44, v21 dst_sel:DWORD dst_unused:UNUSED_PAD src0_sel:DWORD src1_sel:WORD_1
	v_fmamk_f16 v106, v60, 0x3aee, v55
	v_fmac_f16_e32 v55, 0xbaee, v60
	v_fmamk_f16 v60, v28, 0xbaee, v59
	v_mul_f16_sdwa v94, v74, v22 dst_sel:DWORD dst_unused:UNUSED_PAD src0_sel:DWORD src1_sel:WORD_1
	v_mul_f16_sdwa v95, v43, v22 dst_sel:DWORD dst_unused:UNUSED_PAD src0_sel:DWORD src1_sel:WORD_1
	;; [unrolled: 1-line block ×12, first 2 shown]
	v_fmac_f16_e32 v59, 0x3aee, v28
	v_fmamk_f16 v28, v85, 0x3aee, v58
	v_fmac_f16_e32 v58, 0xbaee, v85
	v_fmamk_f16 v85, v29, 0xbaee, v82
	v_fmac_f16_e32 v82, 0x3aee, v29
	v_fma_f16 v29, v32, v16, -v61
	v_fmac_f16_e32 v62, v65, v16
	v_fma_f16 v16, v34, v17, -v63
	;; [unrolled: 2-line block ×12, first 2 shown]
	v_fmac_f16_e32 v105, v81, v27
	v_add_f16_e32 v33, v29, v16
	v_add_f16_e32 v42, v62, v84
	;; [unrolled: 1-line block ×4, first 2 shown]
	v_pack_b32_f16 v14, v14, v30
	v_pack_b32_f16 v30, v55, v59
	v_add_f16_e32 v49, v19, v20
	v_add_f16_e32 v59, v91, v93
	v_pack_b32_f16 v13, v13, v31
	v_pack_b32_f16 v27, v106, v60
	;; [unrolled: 1-line block ×3, first 2 shown]
	v_add_f16_e32 v32, v11, v29
	v_sub_f16_e32 v34, v62, v84
	v_add_f16_e32 v35, v64, v62
	v_sub_f16_e32 v29, v29, v16
	v_add_f16_e32 v43, v12, v17
	v_add_f16_e32 v46, v67, v87
	;; [unrolled: 1-line block ×12, first 2 shown]
	v_fma_f16 v11, -0.5, v33, v11
	v_fmac_f16_e32 v64, -0.5, v42
	v_pack_b32_f16 v28, v28, v85
	v_sub_f16_e32 v45, v87, v89
	v_sub_f16_e32 v17, v17, v18
	v_fmac_f16_e32 v12, -0.5, v44
	v_fmac_f16_e32 v67, -0.5, v47
	v_sub_f16_e32 v55, v91, v93
	v_sub_f16_e32 v19, v19, v20
	v_fma_f16 v9, -0.5, v49, v9
	v_fmac_f16_e32 v70, -0.5, v59
	v_add_f16_e32 v60, v10, v21
	v_sub_f16_e32 v62, v95, v97
	v_add_f16_e32 v63, v73, v95
	v_sub_f16_e32 v21, v21, v22
	v_sub_f16_e32 v69, v99, v101
	;; [unrolled: 1-line block ×3, first 2 shown]
	v_add_f16_e32 v74, v8, v25
	v_sub_f16_e32 v77, v103, v105
	v_add_f16_e32 v78, v79, v103
	v_sub_f16_e32 v25, v25, v26
	ds_write2_b32 v1, v14, v27 offset1:17
	ds_write2_b32 v1, v30, v13 offset0:34 offset1:51
	ds_write2_b32 v1, v28, v31 offset0:68 offset1:85
	v_add_f16_e32 v13, v32, v16
	v_add_f16_e32 v14, v35, v84
	;; [unrolled: 1-line block ×6, first 2 shown]
	v_fmac_f16_e32 v10, -0.5, v61
	v_fmac_f16_e32 v73, -0.5, v65
	v_add_f16_e32 v24, v66, v24
	v_fma_f16 v7, -0.5, v68, v7
	v_add_f16_e32 v30, v71, v101
	v_fmac_f16_e32 v76, -0.5, v72
	v_fmac_f16_e32 v8, -0.5, v75
	;; [unrolled: 1-line block ×3, first 2 shown]
	v_fmamk_f16 v32, v34, 0x3aee, v11
	v_fmamk_f16 v33, v29, 0xbaee, v64
	v_fmac_f16_e32 v11, 0xbaee, v34
	v_fmac_f16_e32 v64, 0x3aee, v29
	v_fmamk_f16 v29, v45, 0x3aee, v12
	v_fmamk_f16 v34, v17, 0xbaee, v67
	v_fmac_f16_e32 v12, 0xbaee, v45
	v_fmac_f16_e32 v67, 0x3aee, v17
	v_fmamk_f16 v17, v55, 0x3aee, v9
	v_fmamk_f16 v35, v19, 0xbaee, v70
	v_add_f16_e32 v22, v60, v22
	v_add_f16_e32 v28, v63, v97
	;; [unrolled: 1-line block ×4, first 2 shown]
	v_fmac_f16_e32 v9, 0xbaee, v55
	v_fmac_f16_e32 v70, 0x3aee, v19
	v_fmamk_f16 v19, v62, 0x3aee, v10
	v_fmac_f16_e32 v10, 0xbaee, v62
	v_fmamk_f16 v42, v21, 0xbaee, v73
	;; [unrolled: 2-line block ×6, first 2 shown]
	v_fmac_f16_e32 v79, 0x3aee, v25
	v_pack_b32_f16 v13, v13, v14
	v_pack_b32_f16 v14, v16, v18
	;; [unrolled: 1-line block ×18, first 2 shown]
	ds_write2_b32 v36, v13, v24 offset0:102 offset1:119
	ds_write_b32 v36, v11 offset:544
	ds_write2_b32 v50, v14, v25 offset0:153 offset1:170
	ds_write_b32 v50, v12 offset:748
	;; [unrolled: 2-line block ×6, first 2 shown]
	v_lshlrev_b64 v[11:12], 2, v[5:6]
	s_waitcnt lgkmcnt(0)
	s_barrier
	buffer_gl0_inv
	s_clause 0x1
	global_load_dwordx4 v[7:10], v56, s[8:9] offset:136
	global_load_dwordx3 v[20:22], v56, s[8:9] offset:152
	v_add_co_u32 v16, s0, s8, v11
	v_add_co_ci_u32_e64 v17, s0, s9, v12, s0
	s_clause 0x3
	global_load_dwordx4 v[11:14], v[16:17], off offset:136
	global_load_dwordx3 v[23:25], v[16:17], off offset:152
	global_load_dwordx4 v[16:19], v56, s[8:9] offset:1088
	global_load_dwordx3 v[26:28], v56, s[8:9] offset:1104
	ds_read2_b32 v[29:30], v1 offset0:238 offset1:255
	ds_read2_b32 v[31:32], v40 offset0:50 offset1:67
	;; [unrolled: 1-line block ×11, first 2 shown]
	ds_read_b32 v40, v37
	ds_read_u16 v55, v1 offset:818
	ds_read_b32 v56, v15
	s_waitcnt vmcnt(0) lgkmcnt(0)
	s_barrier
	buffer_gl0_inv
	v_add_nc_u32_e32 v5, 0x400, v15
	v_lshrrev_b32_e32 v57, 16, v30
	v_lshrrev_b32_e32 v58, 16, v31
	;; [unrolled: 1-line block ×23, first 2 shown]
	v_mul_f16_sdwa v80, v7, v75 dst_sel:DWORD dst_unused:UNUSED_PAD src0_sel:WORD_1 src1_sel:DWORD
	v_mul_f16_sdwa v81, v7, v52 dst_sel:DWORD dst_unused:UNUSED_PAD src0_sel:WORD_1 src1_sel:DWORD
	;; [unrolled: 1-line block ×6, first 2 shown]
	v_mul_f16_sdwa v86, v55, v10 dst_sel:DWORD dst_unused:UNUSED_PAD src0_sel:DWORD src1_sel:WORD_1
	v_mul_f16_sdwa v87, v10, v45 dst_sel:DWORD dst_unused:UNUSED_PAD src0_sel:WORD_1 src1_sel:DWORD
	v_mul_f16_sdwa v88, v57, v20 dst_sel:DWORD dst_unused:UNUSED_PAD src0_sel:DWORD src1_sel:WORD_1
	v_mul_f16_sdwa v89, v30, v20 dst_sel:DWORD dst_unused:UNUSED_PAD src0_sel:DWORD src1_sel:WORD_1
	;; [unrolled: 1-line block ×34, first 2 shown]
	v_fma_f16 v52, v7, v52, -v80
	v_fmac_f16_e32 v81, v7, v75
	v_fma_f16 v7, v8, v41, -v82
	v_fmac_f16_e32 v83, v8, v76
	v_fma_f16 v8, v9, v54, -v84
	v_fmac_f16_e32 v85, v9, v77
	v_fma_f16 v9, v10, v45, -v86
	v_fmac_f16_e32 v87, v55, v10
	v_fma_f16 v10, v30, v20, -v88
	v_fmac_f16_e32 v89, v57, v20
	v_fma_f16 v20, v31, v21, -v90
	v_fmac_f16_e32 v91, v58, v21
	v_fma_f16 v21, v34, v22, -v92
	v_fmac_f16_e32 v93, v59, v22
	v_fma_f16 v22, v35, v11, -v94
	v_fmac_f16_e32 v95, v60, v11
	v_fma_f16 v11, v42, v12, -v96
	v_fmac_f16_e32 v97, v61, v12
	v_fma_f16 v12, v43, v13, -v98
	v_fmac_f16_e32 v99, v62, v13
	v_fma_f16 v13, v46, v14, -v100
	v_fmac_f16_e32 v101, v63, v14
	v_fma_f16 v14, v47, v23, -v102
	v_fmac_f16_e32 v103, v64, v23
	v_fma_f16 v23, v32, v24, -v104
	v_fmac_f16_e32 v105, v65, v24
	v_fma_f16 v24, v49, v25, -v106
	v_fmac_f16_e32 v107, v66, v25
	v_fma_f16 v25, v36, v16, -v108
	v_fmac_f16_e32 v109, v68, v16
	v_fma_f16 v16, v53, v17, -v110
	v_fmac_f16_e32 v111, v69, v17
	v_fma_f16 v17, v44, v18, -v112
	v_fmac_f16_e32 v113, v70, v18
	v_fma_f16 v18, v29, v19, -v114
	v_fmac_f16_e32 v115, v71, v19
	v_fma_f16 v19, v48, v26, -v116
	v_fmac_f16_e32 v117, v72, v26
	v_fma_f16 v26, v33, v27, -v118
	v_fmac_f16_e32 v119, v73, v27
	v_fma_f16 v27, v50, v28, -v120
	v_fmac_f16_e32 v121, v74, v28
	v_sub_f16_e32 v9, v40, v9
	v_sub_f16_e32 v28, v78, v87
	;; [unrolled: 1-line block ×24, first 2 shown]
	v_fma_f16 v40, v40, 2.0, -v9
	v_fma_f16 v44, v78, 2.0, -v28
	v_fma_f16 v7, v7, 2.0, -v20
	v_fma_f16 v45, v83, 2.0, -v29
	v_fma_f16 v46, v52, 2.0, -v10
	v_fma_f16 v47, v81, 2.0, -v30
	v_fma_f16 v8, v8, 2.0, -v21
	v_fma_f16 v48, v85, 2.0, -v31
	v_sub_f16_e32 v29, v9, v29
	v_add_f16_e32 v20, v28, v20
	v_sub_f16_e32 v31, v10, v31
	v_add_f16_e32 v21, v30, v21
	v_fma_f16 v49, v56, 2.0, -v13
	v_fma_f16 v50, v79, 2.0, -v32
	v_fma_f16 v11, v11, 2.0, -v23
	v_fma_f16 v52, v97, 2.0, -v33
	v_fma_f16 v22, v22, 2.0, -v14
	v_fma_f16 v53, v95, 2.0, -v34
	v_fma_f16 v12, v12, 2.0, -v24
	v_fma_f16 v54, v99, 2.0, -v35
	v_sub_f16_e32 v33, v13, v33
	v_add_f16_e32 v23, v32, v23
	v_sub_f16_e32 v35, v14, v35
	v_add_f16_e32 v24, v34, v24
	;; [unrolled: 12-line block ×3, first 2 shown]
	v_sub_f16_e32 v7, v40, v7
	v_sub_f16_e32 v45, v44, v45
	;; [unrolled: 1-line block ×4, first 2 shown]
	v_fma_f16 v9, v9, 2.0, -v29
	v_fma_f16 v28, v28, 2.0, -v20
	;; [unrolled: 1-line block ×4, first 2 shown]
	v_fmamk_f16 v59, v31, 0x39a8, v29
	v_fmamk_f16 v60, v21, 0x39a8, v20
	v_sub_f16_e32 v11, v49, v11
	v_sub_f16_e32 v52, v50, v52
	v_fma_f16 v13, v13, 2.0, -v33
	v_fma_f16 v32, v32, 2.0, -v23
	v_sub_f16_e32 v12, v22, v12
	v_sub_f16_e32 v54, v53, v54
	v_fma_f16 v14, v14, 2.0, -v35
	v_fma_f16 v34, v34, 2.0, -v24
	v_fmamk_f16 v61, v35, 0x39a8, v33
	v_fmamk_f16 v62, v24, 0x39a8, v23
	v_sub_f16_e32 v16, v51, v16
	v_sub_f16_e32 v56, v55, v56
	v_fma_f16 v18, v18, 2.0, -v41
	v_fma_f16 v36, v36, 2.0, -v26
	v_sub_f16_e32 v17, v25, v17
	v_sub_f16_e32 v58, v57, v58
	v_fma_f16 v19, v19, 2.0, -v43
	v_fma_f16 v42, v42, 2.0, -v27
	v_fmamk_f16 v63, v43, 0x39a8, v41
	v_fmamk_f16 v64, v27, 0x39a8, v26
	v_fma_f16 v40, v40, 2.0, -v7
	v_fma_f16 v44, v44, 2.0, -v45
	v_fma_f16 v46, v46, 2.0, -v8
	v_fma_f16 v47, v47, 2.0, -v48
	v_fmamk_f16 v65, v10, 0xb9a8, v9
	v_fmamk_f16 v66, v30, 0xb9a8, v28
	v_sub_f16_e32 v48, v7, v48
	v_add_f16_e32 v8, v45, v8
	v_fmac_f16_e32 v59, 0xb9a8, v21
	v_fmac_f16_e32 v60, 0x39a8, v31
	v_fma_f16 v21, v49, 2.0, -v11
	v_fma_f16 v31, v50, 2.0, -v52
	;; [unrolled: 1-line block ×4, first 2 shown]
	v_fmamk_f16 v50, v14, 0xb9a8, v13
	v_fmamk_f16 v53, v34, 0xb9a8, v32
	v_fmac_f16_e32 v61, 0xb9a8, v24
	v_fmac_f16_e32 v62, 0x39a8, v35
	v_fma_f16 v24, v51, 2.0, -v16
	v_fma_f16 v35, v55, 2.0, -v56
	;; [unrolled: 1-line block ×4, first 2 shown]
	v_fmamk_f16 v55, v19, 0xb9a8, v18
	v_fmamk_f16 v57, v42, 0xb9a8, v36
	v_sub_f16_e32 v58, v16, v58
	v_add_f16_e32 v17, v56, v17
	v_fmac_f16_e32 v63, 0xb9a8, v27
	v_fmac_f16_e32 v64, 0x39a8, v43
	v_sub_f16_e32 v27, v40, v46
	v_sub_f16_e32 v43, v44, v47
	v_fmac_f16_e32 v65, 0xb9a8, v30
	v_fmac_f16_e32 v66, 0x39a8, v10
	v_fma_f16 v7, v7, 2.0, -v48
	v_fma_f16 v10, v45, 2.0, -v8
	v_sub_f16_e32 v22, v21, v22
	v_sub_f16_e32 v30, v31, v49
	v_fmac_f16_e32 v50, 0xb9a8, v34
	v_fmac_f16_e32 v53, 0x39a8, v14
	v_sub_f16_e32 v54, v11, v54
	v_add_f16_e32 v12, v52, v12
	v_fma_f16 v29, v29, 2.0, -v59
	v_fma_f16 v20, v20, 2.0, -v60
	v_sub_f16_e32 v25, v24, v25
	v_sub_f16_e32 v34, v35, v51
	v_fmac_f16_e32 v55, 0xb9a8, v42
	v_fmac_f16_e32 v57, 0x39a8, v19
	v_fma_f16 v16, v16, 2.0, -v58
	v_fma_f16 v19, v56, 2.0, -v17
	;; [unrolled: 1-line block ×8, first 2 shown]
	v_pack_b32_f16 v8, v48, v8
	v_fma_f16 v21, v21, 2.0, -v22
	v_fma_f16 v31, v31, 2.0, -v30
	;; [unrolled: 1-line block ×4, first 2 shown]
	v_pack_b32_f16 v7, v7, v10
	v_fma_f16 v11, v11, 2.0, -v54
	v_fma_f16 v14, v52, 2.0, -v12
	;; [unrolled: 1-line block ×4, first 2 shown]
	v_pack_b32_f16 v42, v59, v60
	v_pack_b32_f16 v10, v29, v20
	;; [unrolled: 1-line block ×3, first 2 shown]
	v_fma_f16 v24, v24, 2.0, -v25
	v_fma_f16 v35, v35, 2.0, -v34
	;; [unrolled: 1-line block ×4, first 2 shown]
	v_pack_b32_f16 v27, v65, v66
	v_pack_b32_f16 v16, v16, v19
	v_pack_b32_f16 v19, v41, v26
	v_pack_b32_f16 v26, v40, v44
	v_pack_b32_f16 v9, v9, v28
	ds_write_b32 v1, v8 offset:1224
	ds_write_b32 v1, v42 offset:1428
	;; [unrolled: 1-line block ×6, first 2 shown]
	v_pack_b32_f16 v7, v21, v31
	v_pack_b32_f16 v10, v13, v32
	v_pack_b32_f16 v8, v11, v14
	v_pack_b32_f16 v11, v33, v23
	v_pack_b32_f16 v14, v22, v30
	v_pack_b32_f16 v22, v50, v53
	v_pack_b32_f16 v12, v54, v12
	v_pack_b32_f16 v45, v61, v62
	v_pack_b32_f16 v17, v58, v17
	v_pack_b32_f16 v46, v63, v64
	v_pack_b32_f16 v23, v25, v34
	v_pack_b32_f16 v25, v55, v57
	v_pack_b32_f16 v13, v24, v35
	v_pack_b32_f16 v18, v18, v36
	ds_write_b32 v1, v26
	ds_write_b32 v1, v9 offset:204
	ds_write2_b32 v15, v7, v10 offset1:51
	ds_write2_b32 v15, v8, v11 offset0:102 offset1:153
	ds_write2_b32 v15, v14, v22 offset0:204 offset1:255
	;; [unrolled: 1-line block ×3, first 2 shown]
	ds_write_b32 v1, v13 offset:136
	ds_write_b32 v1, v18 offset:340
	;; [unrolled: 1-line block ×8, first 2 shown]
	s_waitcnt lgkmcnt(0)
	s_barrier
	buffer_gl0_inv
	ds_read_b32 v5, v37
	v_sub_nc_u32_e32 v9, v38, v39
                                        ; implicit-def: $vgpr12
                                        ; implicit-def: $vgpr10
                                        ; implicit-def: $vgpr11
                                        ; implicit-def: $vgpr7_vgpr8
	v_cmpx_ne_u32_e32 0, v0
	s_xor_b32 s1, exec_lo, s1
	s_cbranch_execz .LBB0_16
; %bb.15:
	v_mov_b32_e32 v1, v6
	v_lshlrev_b64 v[6:7], 2, v[0:1]
	v_add_co_u32 v6, s0, s8, v6
	v_add_co_ci_u32_e64 v7, s0, s9, v7, s0
	global_load_dword v6, v[6:7], off offset:1564
	ds_read_b32 v7, v9 offset:1632
	s_waitcnt lgkmcnt(0)
	v_sub_f16_e32 v8, v5, v7
	v_add_f16_sdwa v10, v7, v5 dst_sel:DWORD dst_unused:UNUSED_PAD src0_sel:WORD_1 src1_sel:WORD_1
	v_sub_f16_sdwa v11, v5, v7 dst_sel:DWORD dst_unused:UNUSED_PAD src0_sel:WORD_1 src1_sel:WORD_1
	v_add_f16_e32 v5, v7, v5
	v_mul_f16_e32 v8, 0.5, v8
	v_mul_f16_e32 v7, 0.5, v10
	;; [unrolled: 1-line block ×3, first 2 shown]
	s_waitcnt vmcnt(0)
	v_lshrrev_b32_e32 v12, 16, v6
	v_mul_f16_e32 v11, v12, v8
	v_fma_f16 v13, v7, v12, v10
	v_fma_f16 v12, v7, v12, -v10
	v_fma_f16 v14, 0.5, v5, v11
	v_fma_f16 v5, v5, 0.5, -v11
	v_fma_f16 v11, -v6, v8, v13
	v_fma_f16 v12, -v6, v8, v12
	v_fmac_f16_e32 v14, v6, v7
	v_fma_f16 v10, -v6, v7, v5
	v_mov_b32_e32 v8, v1
	v_mov_b32_e32 v7, v0
                                        ; implicit-def: $vgpr5
	ds_write_b16 v37, v14
.LBB0_16:
	s_andn2_saveexec_b32 s0, s1
	s_cbranch_execz .LBB0_18
; %bb.17:
	ds_read_u16 v1, v38 offset:818
	v_mov_b32_e32 v7, 0
	s_waitcnt lgkmcnt(1)
	v_add_f16_sdwa v6, v5, v5 dst_sel:DWORD dst_unused:UNUSED_PAD src0_sel:WORD_1 src1_sel:DWORD
	v_sub_f16_sdwa v10, v5, v5 dst_sel:DWORD dst_unused:UNUSED_PAD src0_sel:DWORD src1_sel:WORD_1
	v_mov_b32_e32 v8, 0
	v_mov_b32_e32 v11, 0
	;; [unrolled: 1-line block ×3, first 2 shown]
	s_waitcnt lgkmcnt(0)
	v_xor_b32_e32 v1, 0x8000, v1
	ds_write_b16 v37, v6
	ds_write_b16 v38, v1 offset:818
.LBB0_18:
	s_or_b32 exec_lo, exec_lo, s0
	s_waitcnt lgkmcnt(0)
	v_mov_b32_e32 v5, 0
	v_perm_b32 v10, v12, v10, 0x5040100
	v_lshlrev_b64 v[5:6], 2, v[4:5]
	v_lshl_add_u32 v4, v4, 2, v38
	v_add_co_u32 v5, s0, s8, v5
	v_add_co_ci_u32_e64 v6, s0, s9, v6, s0
	s_add_u32 s0, s8, 0x61c
	s_addc_u32 s1, s9, 0
	global_load_dword v1, v[5:6], off offset:1564
	v_lshlrev_b64 v[5:6], 2, v[7:8]
	v_add_co_u32 v7, s0, s0, v5
	v_add_co_ci_u32_e64 v8, s0, s1, v6, s0
	s_clause 0x3
	global_load_dword v13, v[7:8], off offset:136
	global_load_dword v14, v[7:8], off offset:204
	;; [unrolled: 1-line block ×4, first 2 shown]
	ds_write_b16 v37, v11 offset:2
	ds_write_b32 v9, v10 offset:1632
	ds_read_b32 v10, v4
	ds_read_b32 v11, v9 offset:1564
	global_load_dword v12, v[7:8], off offset:408
	s_waitcnt lgkmcnt(0)
	v_pk_add_f16 v17, v10, v11 neg_lo:[0,1] neg_hi:[0,1]
	v_pk_add_f16 v10, v10, v11
	v_bfi_b32 v11, 0xffff, v17, v10
	v_bfi_b32 v10, 0xffff, v10, v17
	s_clause 0x1
	global_load_dword v17, v[7:8], off offset:476
	global_load_dword v18, v[7:8], off offset:544
	v_pk_mul_f16 v11, v11, 0.5 op_sel_hi:[1,0]
	v_pk_mul_f16 v10, v10, 0.5 op_sel_hi:[1,0]
	s_waitcnt vmcnt(7)
	v_pk_fma_f16 v19, v1, v11, v10 op_sel:[1,0,0]
	v_pk_mul_f16 v20, v1, v11 op_sel_hi:[0,1]
	v_pk_fma_f16 v21, v1, v11, v10 op_sel:[1,0,0] neg_lo:[1,0,0] neg_hi:[1,0,0]
	v_pk_fma_f16 v1, v1, v11, v10 op_sel:[1,0,0] neg_lo:[0,0,1] neg_hi:[0,0,1]
	v_pk_add_f16 v10, v19, v20 op_sel:[0,1] op_sel_hi:[1,0]
	v_pk_add_f16 v11, v19, v20 op_sel:[0,1] op_sel_hi:[1,0] neg_lo:[0,1] neg_hi:[0,1]
	v_pk_add_f16 v19, v21, v20 op_sel:[0,1] op_sel_hi:[1,0] neg_lo:[0,1] neg_hi:[0,1]
	;; [unrolled: 1-line block ×3, first 2 shown]
	v_bfi_b32 v10, 0xffff, v10, v11
	v_bfi_b32 v1, 0xffff, v19, v1
	ds_write_b32 v4, v10
	ds_write_b32 v9, v1 offset:1564
	ds_read_b32 v1, v37 offset:136
	ds_read_b32 v4, v9 offset:1496
	s_waitcnt lgkmcnt(0)
	v_pk_add_f16 v10, v1, v4 neg_lo:[0,1] neg_hi:[0,1]
	v_pk_add_f16 v1, v1, v4
	v_bfi_b32 v4, 0xffff, v10, v1
	v_bfi_b32 v1, 0xffff, v1, v10
	v_pk_mul_f16 v4, v4, 0.5 op_sel_hi:[1,0]
	v_pk_mul_f16 v1, v1, 0.5 op_sel_hi:[1,0]
	s_waitcnt vmcnt(6)
	v_pk_mul_f16 v11, v13, v4 op_sel_hi:[0,1]
	v_pk_fma_f16 v10, v13, v4, v1 op_sel:[1,0,0]
	v_pk_fma_f16 v19, v13, v4, v1 op_sel:[1,0,0] neg_lo:[1,0,0] neg_hi:[1,0,0]
	v_pk_fma_f16 v1, v13, v4, v1 op_sel:[1,0,0] neg_lo:[0,0,1] neg_hi:[0,0,1]
	v_pk_add_f16 v4, v10, v11 op_sel:[0,1] op_sel_hi:[1,0]
	v_pk_add_f16 v10, v10, v11 op_sel:[0,1] op_sel_hi:[1,0] neg_lo:[0,1] neg_hi:[0,1]
	v_pk_add_f16 v13, v19, v11 op_sel:[0,1] op_sel_hi:[1,0] neg_lo:[0,1] neg_hi:[0,1]
	;; [unrolled: 1-line block ×3, first 2 shown]
	v_bfi_b32 v4, 0xffff, v4, v10
	v_bfi_b32 v1, 0xffff, v13, v1
	ds_write_b32 v37, v4 offset:136
	ds_write_b32 v9, v1 offset:1496
	ds_read_b32 v1, v37 offset:204
	ds_read_b32 v4, v9 offset:1428
	s_waitcnt lgkmcnt(0)
	v_pk_add_f16 v10, v1, v4 neg_lo:[0,1] neg_hi:[0,1]
	v_pk_add_f16 v1, v1, v4
	v_bfi_b32 v4, 0xffff, v10, v1
	v_bfi_b32 v1, 0xffff, v1, v10
	v_pk_mul_f16 v4, v4, 0.5 op_sel_hi:[1,0]
	v_pk_mul_f16 v1, v1, 0.5 op_sel_hi:[1,0]
	s_waitcnt vmcnt(5)
	v_pk_mul_f16 v11, v14, v4 op_sel_hi:[0,1]
	v_pk_fma_f16 v10, v14, v4, v1 op_sel:[1,0,0]
	v_pk_fma_f16 v13, v14, v4, v1 op_sel:[1,0,0] neg_lo:[1,0,0] neg_hi:[1,0,0]
	v_pk_fma_f16 v1, v14, v4, v1 op_sel:[1,0,0] neg_lo:[0,0,1] neg_hi:[0,0,1]
	v_pk_add_f16 v4, v10, v11 op_sel:[0,1] op_sel_hi:[1,0]
	v_pk_add_f16 v10, v10, v11 op_sel:[0,1] op_sel_hi:[1,0] neg_lo:[0,1] neg_hi:[0,1]
	v_pk_add_f16 v13, v13, v11 op_sel:[0,1] op_sel_hi:[1,0] neg_lo:[0,1] neg_hi:[0,1]
	v_pk_add_f16 v1, v1, v11 op_sel:[0,1] op_sel_hi:[1,0] neg_lo:[0,1] neg_hi:[0,1]
	v_bfi_b32 v4, 0xffff, v4, v10
	v_bfi_b32 v1, 0xffff, v13, v1
	ds_write_b32 v37, v4 offset:204
	ds_write_b32 v9, v1 offset:1428
	ds_read_b32 v1, v37 offset:272
	ds_read_b32 v4, v9 offset:1360
	global_load_dword v10, v[7:8], off offset:612
	s_waitcnt lgkmcnt(0)
	v_pk_add_f16 v11, v1, v4 neg_lo:[0,1] neg_hi:[0,1]
	v_pk_add_f16 v1, v1, v4
	v_bfi_b32 v4, 0xffff, v11, v1
	v_bfi_b32 v1, 0xffff, v1, v11
	v_pk_mul_f16 v4, v4, 0.5 op_sel_hi:[1,0]
	v_pk_mul_f16 v1, v1, 0.5 op_sel_hi:[1,0]
	s_waitcnt vmcnt(5)
	v_pk_mul_f16 v13, v15, v4 op_sel_hi:[0,1]
	v_pk_fma_f16 v11, v15, v4, v1 op_sel:[1,0,0]
	v_pk_fma_f16 v14, v15, v4, v1 op_sel:[1,0,0] neg_lo:[1,0,0] neg_hi:[1,0,0]
	v_pk_fma_f16 v1, v15, v4, v1 op_sel:[1,0,0] neg_lo:[0,0,1] neg_hi:[0,0,1]
	v_pk_add_f16 v4, v11, v13 op_sel:[0,1] op_sel_hi:[1,0]
	v_pk_add_f16 v11, v11, v13 op_sel:[0,1] op_sel_hi:[1,0] neg_lo:[0,1] neg_hi:[0,1]
	v_pk_add_f16 v14, v14, v13 op_sel:[0,1] op_sel_hi:[1,0] neg_lo:[0,1] neg_hi:[0,1]
	v_pk_add_f16 v1, v1, v13 op_sel:[0,1] op_sel_hi:[1,0] neg_lo:[0,1] neg_hi:[0,1]
	v_bfi_b32 v4, 0xffff, v4, v11
	v_bfi_b32 v1, 0xffff, v14, v1
	ds_write_b32 v37, v4 offset:272
	ds_write_b32 v9, v1 offset:1360
	ds_read_b32 v1, v37 offset:340
	ds_read_b32 v4, v9 offset:1292
	global_load_dword v11, v[7:8], off offset:680
	;; [unrolled: 23-line block ×3, first 2 shown]
	s_waitcnt lgkmcnt(0)
	v_pk_add_f16 v7, v1, v4 neg_lo:[0,1] neg_hi:[0,1]
	v_pk_add_f16 v1, v1, v4
	v_bfi_b32 v4, 0xffff, v7, v1
	v_bfi_b32 v1, 0xffff, v1, v7
	v_pk_mul_f16 v4, v4, 0.5 op_sel_hi:[1,0]
	v_pk_mul_f16 v1, v1, 0.5 op_sel_hi:[1,0]
	s_waitcnt vmcnt(5)
	v_pk_mul_f16 v8, v12, v4 op_sel_hi:[0,1]
	v_pk_fma_f16 v7, v12, v4, v1 op_sel:[1,0,0]
	v_pk_fma_f16 v14, v12, v4, v1 op_sel:[1,0,0] neg_lo:[1,0,0] neg_hi:[1,0,0]
	v_pk_fma_f16 v1, v12, v4, v1 op_sel:[1,0,0] neg_lo:[0,0,1] neg_hi:[0,0,1]
	v_pk_add_f16 v4, v7, v8 op_sel:[0,1] op_sel_hi:[1,0]
	v_pk_add_f16 v7, v7, v8 op_sel:[0,1] op_sel_hi:[1,0] neg_lo:[0,1] neg_hi:[0,1]
	v_pk_add_f16 v12, v14, v8 op_sel:[0,1] op_sel_hi:[1,0] neg_lo:[0,1] neg_hi:[0,1]
	;; [unrolled: 1-line block ×3, first 2 shown]
	v_bfi_b32 v4, 0xffff, v4, v7
	v_bfi_b32 v1, 0xffff, v12, v1
	ds_write_b32 v37, v4 offset:408
	ds_write_b32 v9, v1 offset:1224
	ds_read_b32 v1, v37 offset:476
	ds_read_b32 v4, v9 offset:1156
	s_waitcnt lgkmcnt(0)
	v_pk_add_f16 v7, v1, v4 neg_lo:[0,1] neg_hi:[0,1]
	v_pk_add_f16 v1, v1, v4
	v_bfi_b32 v4, 0xffff, v7, v1
	v_bfi_b32 v1, 0xffff, v1, v7
	v_pk_mul_f16 v4, v4, 0.5 op_sel_hi:[1,0]
	v_pk_mul_f16 v1, v1, 0.5 op_sel_hi:[1,0]
	s_waitcnt vmcnt(4)
	v_pk_mul_f16 v8, v17, v4 op_sel_hi:[0,1]
	v_pk_fma_f16 v7, v17, v4, v1 op_sel:[1,0,0]
	v_pk_fma_f16 v12, v17, v4, v1 op_sel:[1,0,0] neg_lo:[1,0,0] neg_hi:[1,0,0]
	v_pk_fma_f16 v1, v17, v4, v1 op_sel:[1,0,0] neg_lo:[0,0,1] neg_hi:[0,0,1]
	v_pk_add_f16 v4, v7, v8 op_sel:[0,1] op_sel_hi:[1,0]
	v_pk_add_f16 v7, v7, v8 op_sel:[0,1] op_sel_hi:[1,0] neg_lo:[0,1] neg_hi:[0,1]
	v_pk_add_f16 v12, v12, v8 op_sel:[0,1] op_sel_hi:[1,0] neg_lo:[0,1] neg_hi:[0,1]
	v_pk_add_f16 v1, v1, v8 op_sel:[0,1] op_sel_hi:[1,0] neg_lo:[0,1] neg_hi:[0,1]
	v_bfi_b32 v4, 0xffff, v4, v7
	v_bfi_b32 v1, 0xffff, v12, v1
	ds_write_b32 v37, v4 offset:476
	ds_write_b32 v9, v1 offset:1156
	ds_read_b32 v1, v37 offset:544
	ds_read_b32 v4, v9 offset:1088
	s_waitcnt lgkmcnt(0)
	v_pk_add_f16 v7, v1, v4 neg_lo:[0,1] neg_hi:[0,1]
	v_pk_add_f16 v1, v1, v4
	v_bfi_b32 v4, 0xffff, v7, v1
	v_bfi_b32 v1, 0xffff, v1, v7
	v_pk_mul_f16 v4, v4, 0.5 op_sel_hi:[1,0]
	v_pk_mul_f16 v1, v1, 0.5 op_sel_hi:[1,0]
	s_waitcnt vmcnt(3)
	v_pk_mul_f16 v8, v18, v4 op_sel_hi:[0,1]
	v_pk_fma_f16 v7, v18, v4, v1 op_sel:[1,0,0]
	v_pk_fma_f16 v12, v18, v4, v1 op_sel:[1,0,0] neg_lo:[1,0,0] neg_hi:[1,0,0]
	v_pk_fma_f16 v1, v18, v4, v1 op_sel:[1,0,0] neg_lo:[0,0,1] neg_hi:[0,0,1]
	v_pk_add_f16 v4, v7, v8 op_sel:[0,1] op_sel_hi:[1,0]
	v_pk_add_f16 v7, v7, v8 op_sel:[0,1] op_sel_hi:[1,0] neg_lo:[0,1] neg_hi:[0,1]
	v_pk_add_f16 v12, v12, v8 op_sel:[0,1] op_sel_hi:[1,0] neg_lo:[0,1] neg_hi:[0,1]
	;; [unrolled: 1-line block ×3, first 2 shown]
	v_xor_b32_e32 v8, 0xff, v0
	v_bfi_b32 v4, 0xffff, v4, v7
	v_bfi_b32 v1, 0xffff, v12, v1
	v_lshl_add_u32 v12, v8, 2, v38
	ds_write_b32 v37, v4 offset:544
	ds_write_b32 v9, v1 offset:1088
	ds_read2_b32 v[7:8], v37 offset0:153 offset1:170
	ds_read_b32 v1, v12
	s_waitcnt lgkmcnt(0)
	v_pk_add_f16 v4, v7, v1 neg_lo:[0,1] neg_hi:[0,1]
	v_pk_add_f16 v1, v7, v1
	v_bfi_b32 v7, 0xffff, v4, v1
	v_bfi_b32 v1, 0xffff, v1, v4
	v_pk_mul_f16 v7, v7, 0.5 op_sel_hi:[1,0]
	v_pk_mul_f16 v14, v1, 0.5 op_sel_hi:[1,0]
	s_waitcnt vmcnt(2)
	v_pk_mul_f16 v4, v10, v7 op_sel:[1,0]
	v_pk_mul_f16 v7, v10, v7 op_sel_hi:[0,1]
	v_pk_fma_f16 v1, v1, 0.5, v4 op_sel_hi:[1,0,1]
	v_bfi_b32 v10, 0xffff, v14, v4
	v_bfi_b32 v4, 0xffff, v4, v14
	v_pk_add_f16 v14, v1, v7 op_sel:[0,1] op_sel_hi:[1,0]
	v_pk_add_f16 v1, v1, v7 op_sel:[0,1] op_sel_hi:[1,0] neg_lo:[0,1] neg_hi:[0,1]
	v_pk_add_f16 v4, v10, v4 neg_lo:[0,1] neg_hi:[0,1]
	v_bfi_b32 v1, 0xffff, v14, v1
	v_pk_add_f16 v4, v4, v7 op_sel:[0,1] op_sel_hi:[1,0] neg_lo:[0,1] neg_hi:[0,1]
	ds_write_b32 v37, v1 offset:612
	ds_write_b32 v12, v4
	ds_read_b32 v1, v9 offset:952
	s_waitcnt lgkmcnt(0)
	v_pk_add_f16 v4, v8, v1 neg_lo:[0,1] neg_hi:[0,1]
	v_pk_add_f16 v1, v8, v1
	v_bfi_b32 v7, 0xffff, v4, v1
	v_bfi_b32 v1, 0xffff, v1, v4
	v_pk_mul_f16 v4, v7, 0.5 op_sel_hi:[1,0]
	v_pk_mul_f16 v1, v1, 0.5 op_sel_hi:[1,0]
	s_waitcnt vmcnt(1)
	v_pk_mul_f16 v8, v11, v4 op_sel_hi:[0,1]
	v_pk_fma_f16 v7, v11, v4, v1 op_sel:[1,0,0]
	v_pk_fma_f16 v10, v11, v4, v1 op_sel:[1,0,0] neg_lo:[1,0,0] neg_hi:[1,0,0]
	v_pk_fma_f16 v1, v11, v4, v1 op_sel:[1,0,0] neg_lo:[0,0,1] neg_hi:[0,0,1]
	v_pk_add_f16 v4, v7, v8 op_sel:[0,1] op_sel_hi:[1,0]
	v_pk_add_f16 v7, v7, v8 op_sel:[0,1] op_sel_hi:[1,0] neg_lo:[0,1] neg_hi:[0,1]
	v_pk_add_f16 v10, v10, v8 op_sel:[0,1] op_sel_hi:[1,0] neg_lo:[0,1] neg_hi:[0,1]
	;; [unrolled: 1-line block ×3, first 2 shown]
	v_bfi_b32 v4, 0xffff, v4, v7
	v_bfi_b32 v1, 0xffff, v10, v1
	ds_write_b32 v37, v4 offset:680
	ds_write_b32 v9, v1 offset:952
	ds_read_b32 v1, v37 offset:748
	ds_read_b32 v4, v9 offset:884
	s_waitcnt lgkmcnt(0)
	v_pk_add_f16 v7, v1, v4 neg_lo:[0,1] neg_hi:[0,1]
	v_pk_add_f16 v1, v1, v4
	v_bfi_b32 v4, 0xffff, v7, v1
	v_bfi_b32 v1, 0xffff, v1, v7
	v_pk_mul_f16 v4, v4, 0.5 op_sel_hi:[1,0]
	v_pk_mul_f16 v1, v1, 0.5 op_sel_hi:[1,0]
	s_waitcnt vmcnt(0)
	v_pk_mul_f16 v8, v13, v4 op_sel_hi:[0,1]
	v_pk_fma_f16 v7, v13, v4, v1 op_sel:[1,0,0]
	v_pk_fma_f16 v10, v13, v4, v1 op_sel:[1,0,0] neg_lo:[1,0,0] neg_hi:[1,0,0]
	v_pk_fma_f16 v1, v13, v4, v1 op_sel:[1,0,0] neg_lo:[0,0,1] neg_hi:[0,0,1]
	v_pk_add_f16 v4, v7, v8 op_sel:[0,1] op_sel_hi:[1,0]
	v_pk_add_f16 v7, v7, v8 op_sel:[0,1] op_sel_hi:[1,0] neg_lo:[0,1] neg_hi:[0,1]
	v_pk_add_f16 v10, v10, v8 op_sel:[0,1] op_sel_hi:[1,0] neg_lo:[0,1] neg_hi:[0,1]
	;; [unrolled: 1-line block ×3, first 2 shown]
	v_bfi_b32 v4, 0xffff, v4, v7
	v_bfi_b32 v1, 0xffff, v10, v1
	ds_write_b32 v37, v4 offset:748
	ds_write_b32 v9, v1 offset:884
	s_waitcnt lgkmcnt(0)
	s_barrier
	buffer_gl0_inv
	s_and_saveexec_b32 s0, vcc_lo
	s_cbranch_execz .LBB0_21
; %bb.19:
	ds_read2_b32 v[7:8], v37 offset1:17
	ds_read2_b32 v[9:10], v37 offset0:34 offset1:51
	v_add_co_u32 v1, vcc_lo, s2, v2
	v_add_co_ci_u32_e32 v2, vcc_lo, s3, v3, vcc_lo
	v_add_nc_u32_e32 v25, 0x400, v37
	v_add_co_u32 v5, vcc_lo, v1, v5
	v_add_co_ci_u32_e32 v6, vcc_lo, v2, v6, vcc_lo
	ds_read2_b32 v[3:4], v37 offset0:68 offset1:85
	ds_read2_b32 v[11:12], v37 offset0:102 offset1:119
	;; [unrolled: 1-line block ×8, first 2 shown]
	v_cmp_eq_u32_e32 vcc_lo, 16, v0
	s_waitcnt lgkmcnt(9)
	global_store_dword v[5:6], v7, off
	global_store_dword v[5:6], v8, off offset:68
	s_waitcnt lgkmcnt(8)
	global_store_dword v[5:6], v9, off offset:136
	ds_read2_b32 v[7:8], v25 offset0:84 offset1:101
	global_store_dword v[5:6], v10, off offset:204
	ds_read2_b32 v[9:10], v25 offset0:118 offset1:135
	s_waitcnt lgkmcnt(9)
	global_store_dword v[5:6], v3, off offset:272
	global_store_dword v[5:6], v4, off offset:340
	s_waitcnt lgkmcnt(8)
	global_store_dword v[5:6], v11, off offset:408
	global_store_dword v[5:6], v12, off offset:476
	;; [unrolled: 3-line block ×10, first 2 shown]
	s_and_b32 exec_lo, exec_lo, vcc_lo
	s_cbranch_execz .LBB0_21
; %bb.20:
	ds_read_b32 v0, v37 offset:1568
	s_waitcnt lgkmcnt(0)
	global_store_dword v[1:2], v0, off offset:1632
.LBB0_21:
	s_endpgm
	.section	.rodata,"a",@progbits
	.p2align	6, 0x0
	.amdhsa_kernel fft_rtc_fwd_len408_factors_17_3_8_wgs_51_tpt_17_halfLds_half_ip_CI_unitstride_sbrr_R2C_dirReg
		.amdhsa_group_segment_fixed_size 0
		.amdhsa_private_segment_fixed_size 0
		.amdhsa_kernarg_size 88
		.amdhsa_user_sgpr_count 6
		.amdhsa_user_sgpr_private_segment_buffer 1
		.amdhsa_user_sgpr_dispatch_ptr 0
		.amdhsa_user_sgpr_queue_ptr 0
		.amdhsa_user_sgpr_kernarg_segment_ptr 1
		.amdhsa_user_sgpr_dispatch_id 0
		.amdhsa_user_sgpr_flat_scratch_init 0
		.amdhsa_user_sgpr_private_segment_size 0
		.amdhsa_wavefront_size32 1
		.amdhsa_uses_dynamic_stack 0
		.amdhsa_system_sgpr_private_segment_wavefront_offset 0
		.amdhsa_system_sgpr_workgroup_id_x 1
		.amdhsa_system_sgpr_workgroup_id_y 0
		.amdhsa_system_sgpr_workgroup_id_z 0
		.amdhsa_system_sgpr_workgroup_info 0
		.amdhsa_system_vgpr_workitem_id 0
		.amdhsa_next_free_vgpr 195
		.amdhsa_next_free_sgpr 21
		.amdhsa_reserve_vcc 1
		.amdhsa_reserve_flat_scratch 0
		.amdhsa_float_round_mode_32 0
		.amdhsa_float_round_mode_16_64 0
		.amdhsa_float_denorm_mode_32 3
		.amdhsa_float_denorm_mode_16_64 3
		.amdhsa_dx10_clamp 1
		.amdhsa_ieee_mode 1
		.amdhsa_fp16_overflow 0
		.amdhsa_workgroup_processor_mode 1
		.amdhsa_memory_ordered 1
		.amdhsa_forward_progress 0
		.amdhsa_shared_vgpr_count 0
		.amdhsa_exception_fp_ieee_invalid_op 0
		.amdhsa_exception_fp_denorm_src 0
		.amdhsa_exception_fp_ieee_div_zero 0
		.amdhsa_exception_fp_ieee_overflow 0
		.amdhsa_exception_fp_ieee_underflow 0
		.amdhsa_exception_fp_ieee_inexact 0
		.amdhsa_exception_int_div_zero 0
	.end_amdhsa_kernel
	.text
.Lfunc_end0:
	.size	fft_rtc_fwd_len408_factors_17_3_8_wgs_51_tpt_17_halfLds_half_ip_CI_unitstride_sbrr_R2C_dirReg, .Lfunc_end0-fft_rtc_fwd_len408_factors_17_3_8_wgs_51_tpt_17_halfLds_half_ip_CI_unitstride_sbrr_R2C_dirReg
                                        ; -- End function
	.section	.AMDGPU.csdata,"",@progbits
; Kernel info:
; codeLenInByte = 19500
; NumSgprs: 23
; NumVgprs: 195
; ScratchSize: 0
; MemoryBound: 0
; FloatMode: 240
; IeeeMode: 1
; LDSByteSize: 0 bytes/workgroup (compile time only)
; SGPRBlocks: 2
; VGPRBlocks: 24
; NumSGPRsForWavesPerEU: 23
; NumVGPRsForWavesPerEU: 195
; Occupancy: 4
; WaveLimiterHint : 1
; COMPUTE_PGM_RSRC2:SCRATCH_EN: 0
; COMPUTE_PGM_RSRC2:USER_SGPR: 6
; COMPUTE_PGM_RSRC2:TRAP_HANDLER: 0
; COMPUTE_PGM_RSRC2:TGID_X_EN: 1
; COMPUTE_PGM_RSRC2:TGID_Y_EN: 0
; COMPUTE_PGM_RSRC2:TGID_Z_EN: 0
; COMPUTE_PGM_RSRC2:TIDIG_COMP_CNT: 0
	.text
	.p2alignl 6, 3214868480
	.fill 48, 4, 3214868480
	.type	__hip_cuid_4c7a97a6e4b1d969,@object ; @__hip_cuid_4c7a97a6e4b1d969
	.section	.bss,"aw",@nobits
	.globl	__hip_cuid_4c7a97a6e4b1d969
__hip_cuid_4c7a97a6e4b1d969:
	.byte	0                               ; 0x0
	.size	__hip_cuid_4c7a97a6e4b1d969, 1

	.ident	"AMD clang version 19.0.0git (https://github.com/RadeonOpenCompute/llvm-project roc-6.4.0 25133 c7fe45cf4b819c5991fe208aaa96edf142730f1d)"
	.section	".note.GNU-stack","",@progbits
	.addrsig
	.addrsig_sym __hip_cuid_4c7a97a6e4b1d969
	.amdgpu_metadata
---
amdhsa.kernels:
  - .args:
      - .actual_access:  read_only
        .address_space:  global
        .offset:         0
        .size:           8
        .value_kind:     global_buffer
      - .offset:         8
        .size:           8
        .value_kind:     by_value
      - .actual_access:  read_only
        .address_space:  global
        .offset:         16
        .size:           8
        .value_kind:     global_buffer
      - .actual_access:  read_only
        .address_space:  global
        .offset:         24
        .size:           8
        .value_kind:     global_buffer
      - .offset:         32
        .size:           8
        .value_kind:     by_value
      - .actual_access:  read_only
        .address_space:  global
        .offset:         40
        .size:           8
        .value_kind:     global_buffer
      - .actual_access:  read_only
        .address_space:  global
        .offset:         48
        .size:           8
        .value_kind:     global_buffer
      - .offset:         56
        .size:           4
        .value_kind:     by_value
      - .actual_access:  read_only
        .address_space:  global
        .offset:         64
        .size:           8
        .value_kind:     global_buffer
      - .actual_access:  read_only
        .address_space:  global
        .offset:         72
        .size:           8
        .value_kind:     global_buffer
      - .address_space:  global
        .offset:         80
        .size:           8
        .value_kind:     global_buffer
    .group_segment_fixed_size: 0
    .kernarg_segment_align: 8
    .kernarg_segment_size: 88
    .language:       OpenCL C
    .language_version:
      - 2
      - 0
    .max_flat_workgroup_size: 51
    .name:           fft_rtc_fwd_len408_factors_17_3_8_wgs_51_tpt_17_halfLds_half_ip_CI_unitstride_sbrr_R2C_dirReg
    .private_segment_fixed_size: 0
    .sgpr_count:     23
    .sgpr_spill_count: 0
    .symbol:         fft_rtc_fwd_len408_factors_17_3_8_wgs_51_tpt_17_halfLds_half_ip_CI_unitstride_sbrr_R2C_dirReg.kd
    .uniform_work_group_size: 1
    .uses_dynamic_stack: false
    .vgpr_count:     195
    .vgpr_spill_count: 0
    .wavefront_size: 32
    .workgroup_processor_mode: 1
amdhsa.target:   amdgcn-amd-amdhsa--gfx1030
amdhsa.version:
  - 1
  - 2
...

	.end_amdgpu_metadata
